;; amdgpu-corpus repo=ROCm/rocSOLVER kind=compiled arch=gfx90a opt=O3
	.text
	.amdgcn_target "amdgcn-amd-amdhsa--gfx90a"
	.amdhsa_code_object_version 6
	.section	.text._ZN9rocsolver6v33100L10reset_infoIiiiEEvPT_T0_T1_S4_,"axG",@progbits,_ZN9rocsolver6v33100L10reset_infoIiiiEEvPT_T0_T1_S4_,comdat
	.globl	_ZN9rocsolver6v33100L10reset_infoIiiiEEvPT_T0_T1_S4_ ; -- Begin function _ZN9rocsolver6v33100L10reset_infoIiiiEEvPT_T0_T1_S4_
	.p2align	8
	.type	_ZN9rocsolver6v33100L10reset_infoIiiiEEvPT_T0_T1_S4_,@function
_ZN9rocsolver6v33100L10reset_infoIiiiEEvPT_T0_T1_S4_: ; @_ZN9rocsolver6v33100L10reset_infoIiiiEEvPT_T0_T1_S4_
; %bb.0:
	s_load_dword s7, s[4:5], 0x24
	s_load_dwordx4 s[0:3], s[4:5], 0x8
	s_waitcnt lgkmcnt(0)
	s_and_b32 s3, s7, 0xffff
	s_mul_i32 s6, s6, s3
	v_add_u32_e32 v0, s6, v0
	v_cmp_gt_i32_e32 vcc, s0, v0
	s_and_saveexec_b64 s[6:7], vcc
	s_cbranch_execz .LBB0_2
; %bb.1:
	s_load_dwordx2 s[4:5], s[4:5], 0x0
	v_ashrrev_i32_e32 v1, 31, v0
	v_lshlrev_b64 v[2:3], 2, v[0:1]
	v_mul_lo_u32 v0, v0, s2
	v_add_u32_e32 v0, s1, v0
	s_waitcnt lgkmcnt(0)
	v_mov_b32_e32 v1, s5
	v_add_co_u32_e32 v2, vcc, s4, v2
	v_addc_co_u32_e32 v3, vcc, v1, v3, vcc
	global_store_dword v[2:3], v0, off
.LBB0_2:
	s_endpgm
	.section	.rodata,"a",@progbits
	.p2align	6, 0x0
	.amdhsa_kernel _ZN9rocsolver6v33100L10reset_infoIiiiEEvPT_T0_T1_S4_
		.amdhsa_group_segment_fixed_size 0
		.amdhsa_private_segment_fixed_size 0
		.amdhsa_kernarg_size 280
		.amdhsa_user_sgpr_count 6
		.amdhsa_user_sgpr_private_segment_buffer 1
		.amdhsa_user_sgpr_dispatch_ptr 0
		.amdhsa_user_sgpr_queue_ptr 0
		.amdhsa_user_sgpr_kernarg_segment_ptr 1
		.amdhsa_user_sgpr_dispatch_id 0
		.amdhsa_user_sgpr_flat_scratch_init 0
		.amdhsa_user_sgpr_kernarg_preload_length 0
		.amdhsa_user_sgpr_kernarg_preload_offset 0
		.amdhsa_user_sgpr_private_segment_size 0
		.amdhsa_uses_dynamic_stack 0
		.amdhsa_system_sgpr_private_segment_wavefront_offset 0
		.amdhsa_system_sgpr_workgroup_id_x 1
		.amdhsa_system_sgpr_workgroup_id_y 0
		.amdhsa_system_sgpr_workgroup_id_z 0
		.amdhsa_system_sgpr_workgroup_info 0
		.amdhsa_system_vgpr_workitem_id 0
		.amdhsa_next_free_vgpr 4
		.amdhsa_next_free_sgpr 8
		.amdhsa_accum_offset 4
		.amdhsa_reserve_vcc 1
		.amdhsa_reserve_flat_scratch 0
		.amdhsa_float_round_mode_32 0
		.amdhsa_float_round_mode_16_64 0
		.amdhsa_float_denorm_mode_32 3
		.amdhsa_float_denorm_mode_16_64 3
		.amdhsa_dx10_clamp 1
		.amdhsa_ieee_mode 1
		.amdhsa_fp16_overflow 0
		.amdhsa_tg_split 0
		.amdhsa_exception_fp_ieee_invalid_op 0
		.amdhsa_exception_fp_denorm_src 0
		.amdhsa_exception_fp_ieee_div_zero 0
		.amdhsa_exception_fp_ieee_overflow 0
		.amdhsa_exception_fp_ieee_underflow 0
		.amdhsa_exception_fp_ieee_inexact 0
		.amdhsa_exception_int_div_zero 0
	.end_amdhsa_kernel
	.section	.text._ZN9rocsolver6v33100L10reset_infoIiiiEEvPT_T0_T1_S4_,"axG",@progbits,_ZN9rocsolver6v33100L10reset_infoIiiiEEvPT_T0_T1_S4_,comdat
.Lfunc_end0:
	.size	_ZN9rocsolver6v33100L10reset_infoIiiiEEvPT_T0_T1_S4_, .Lfunc_end0-_ZN9rocsolver6v33100L10reset_infoIiiiEEvPT_T0_T1_S4_
                                        ; -- End function
	.section	.AMDGPU.csdata,"",@progbits
; Kernel info:
; codeLenInByte = 108
; NumSgprs: 12
; NumVgprs: 4
; NumAgprs: 0
; TotalNumVgprs: 4
; ScratchSize: 0
; MemoryBound: 0
; FloatMode: 240
; IeeeMode: 1
; LDSByteSize: 0 bytes/workgroup (compile time only)
; SGPRBlocks: 1
; VGPRBlocks: 0
; NumSGPRsForWavesPerEU: 12
; NumVGPRsForWavesPerEU: 4
; AccumOffset: 4
; Occupancy: 8
; WaveLimiterHint : 0
; COMPUTE_PGM_RSRC2:SCRATCH_EN: 0
; COMPUTE_PGM_RSRC2:USER_SGPR: 6
; COMPUTE_PGM_RSRC2:TRAP_HANDLER: 0
; COMPUTE_PGM_RSRC2:TGID_X_EN: 1
; COMPUTE_PGM_RSRC2:TGID_Y_EN: 0
; COMPUTE_PGM_RSRC2:TGID_Z_EN: 0
; COMPUTE_PGM_RSRC2:TIDIG_COMP_CNT: 0
; COMPUTE_PGM_RSRC3_GFX90A:ACCUM_OFFSET: 0
; COMPUTE_PGM_RSRC3_GFX90A:TG_SPLIT: 0
	.section	.text._ZN9rocsolver6v33100L18stebz_case1_kernelIfPfEEv15rocblas_erange_T_S4_T0_ilPiS6_PS4_lS6_lS6_li,"axG",@progbits,_ZN9rocsolver6v33100L18stebz_case1_kernelIfPfEEv15rocblas_erange_T_S4_T0_ilPiS6_PS4_lS6_lS6_li,comdat
	.globl	_ZN9rocsolver6v33100L18stebz_case1_kernelIfPfEEv15rocblas_erange_T_S4_T0_ilPiS6_PS4_lS6_lS6_li ; -- Begin function _ZN9rocsolver6v33100L18stebz_case1_kernelIfPfEEv15rocblas_erange_T_S4_T0_ilPiS6_PS4_lS6_lS6_li
	.p2align	8
	.type	_ZN9rocsolver6v33100L18stebz_case1_kernelIfPfEEv15rocblas_erange_T_S4_T0_ilPiS6_PS4_lS6_lS6_li,@function
_ZN9rocsolver6v33100L18stebz_case1_kernelIfPfEEv15rocblas_erange_T_S4_T0_ilPiS6_PS4_lS6_lS6_li: ; @_ZN9rocsolver6v33100L18stebz_case1_kernelIfPfEEv15rocblas_erange_T_S4_T0_ilPiS6_PS4_lS6_lS6_li
; %bb.0:
	s_load_dword s0, s[4:5], 0x7c
	s_load_dword s1, s[4:5], 0x68
	s_waitcnt lgkmcnt(0)
	s_and_b32 s0, s0, 0xffff
	s_mul_i32 s6, s6, s0
	v_add_u32_e32 v0, s6, v0
	v_cmp_gt_i32_e32 vcc, s1, v0
	s_and_saveexec_b64 s[0:1], vcc
	s_cbranch_execz .LBB1_7
; %bb.1:
	s_load_dword s0, s[4:5], 0x18
	s_load_dwordx16 s[8:23], s[4:5], 0x20
	s_load_dwordx2 s[2:3], s[4:5], 0x10
	v_ashrrev_i32_e32 v1, 31, v0
	s_waitcnt lgkmcnt(0)
	s_ashr_i32 s1, s0, 31
	v_mul_lo_u32 v4, v0, s9
	v_mul_lo_u32 v5, v1, s8
	v_mad_u64_u32 v[2:3], s[6:7], v0, s8, 0
	s_lshl_b64 s[0:1], s[0:1], 2
	v_add3_u32 v3, v3, v4, v5
	s_add_u32 s0, s0, s2
	v_lshlrev_b64 v[2:3], 2, v[2:3]
	s_addc_u32 s1, s1, s3
	v_mov_b32_e32 v4, s1
	v_add_co_u32_e32 v2, vcc, s0, v2
	v_addc_co_u32_e32 v3, vcc, v4, v3, vcc
	global_load_dword v4, v[2:3], off
	s_load_dwordx2 s[6:7], s[4:5], 0x60
	s_load_dwordx4 s[0:3], s[4:5], 0x0
	s_waitcnt lgkmcnt(0)
	v_mul_lo_u32 v5, v0, s7
	v_mul_lo_u32 v6, v1, s6
	v_mad_u64_u32 v[2:3], s[4:5], v0, s6, 0
	v_add3_u32 v3, v3, v5, v6
	v_lshlrev_b64 v[2:3], 2, v[2:3]
	v_mov_b32_e32 v5, s23
	v_add_co_u32_e32 v6, vcc, s22, v2
	v_addc_co_u32_e32 v7, vcc, v5, v3, vcc
	v_lshlrev_b64 v[2:3], 2, v[0:1]
	v_mov_b32_e32 v5, s13
	v_add_co_u32_e32 v8, vcc, s12, v2
	s_cmpk_lg_i32 s0, 0xe8
	v_addc_co_u32_e32 v9, vcc, v5, v3, vcc
	s_cselect_b64 s[4:5], -1, 0
	v_mov_b32_e32 v5, 1
	s_and_b64 vcc, exec, s[4:5]
	global_store_dword v[8:9], v5, off
	global_store_dword v[6:7], v5, off
	s_cbranch_vccnz .LBB1_3
; %bb.2:
	s_waitcnt vmcnt(2)
	v_cmp_nge_f32_e32 vcc, s1, v4
	v_cmp_nlt_f32_e64 s[0:1], s2, v4
	s_and_b64 s[2:3], vcc, s[0:1]
	s_andn2_b64 s[4:5], s[4:5], exec
	s_and_b64 s[2:3], s[2:3], exec
	s_mov_b64 s[0:1], -1
	s_or_b64 s[4:5], s[4:5], s[2:3]
	s_and_saveexec_b64 s[2:3], s[4:5]
	s_xor_b64 s[2:3], exec, s[2:3]
	s_cbranch_execnz .LBB1_4
	s_branch .LBB1_5
.LBB1_3:
	s_mov_b64 s[0:1], 0
	s_and_saveexec_b64 s[2:3], s[4:5]
	s_xor_b64 s[2:3], exec, s[2:3]
	s_cbranch_execz .LBB1_5
.LBB1_4:
	v_mul_lo_u32 v5, v1, s16
	v_mul_lo_u32 v8, v0, s17
	v_mad_u64_u32 v[6:7], s[4:5], v0, s16, 0
	v_add3_u32 v7, v7, v8, v5
	v_lshlrev_b64 v[6:7], 2, v[6:7]
	v_mov_b32_e32 v5, s15
	v_add_co_u32_e32 v6, vcc, s14, v6
	v_addc_co_u32_e32 v7, vcc, v5, v7, vcc
	v_mul_lo_u32 v5, v1, s20
	v_mul_lo_u32 v8, v0, s21
	v_mad_u64_u32 v[0:1], s[4:5], v0, s20, 0
	v_add3_u32 v1, v1, v8, v5
	v_lshlrev_b64 v[0:1], 2, v[0:1]
	v_mov_b32_e32 v5, s19
	v_add_co_u32_e32 v0, vcc, s18, v0
	v_addc_co_u32_e32 v1, vcc, v5, v1, vcc
	v_mov_b32_e32 v5, s11
	v_add_co_u32_e32 v8, vcc, s10, v2
	v_addc_co_u32_e32 v9, vcc, v5, v3, vcc
	v_mov_b32_e32 v5, 1
	global_store_dword v[8:9], v5, off
	s_waitcnt vmcnt(3)
	global_store_dword v[6:7], v4, off
	global_store_dword v[0:1], v5, off
	s_andn2_b64 s[0:1], s[0:1], exec
.LBB1_5:
	s_or_b64 exec, exec, s[2:3]
	s_and_b64 exec, exec, s[0:1]
	s_cbranch_execz .LBB1_7
; %bb.6:
	v_mov_b32_e32 v1, s11
	v_add_co_u32_e32 v0, vcc, s10, v2
	v_addc_co_u32_e32 v1, vcc, v1, v3, vcc
	v_mov_b32_e32 v2, 0
	global_store_dword v[0:1], v2, off
.LBB1_7:
	s_endpgm
	.section	.rodata,"a",@progbits
	.p2align	6, 0x0
	.amdhsa_kernel _ZN9rocsolver6v33100L18stebz_case1_kernelIfPfEEv15rocblas_erange_T_S4_T0_ilPiS6_PS4_lS6_lS6_li
		.amdhsa_group_segment_fixed_size 0
		.amdhsa_private_segment_fixed_size 0
		.amdhsa_kernarg_size 368
		.amdhsa_user_sgpr_count 6
		.amdhsa_user_sgpr_private_segment_buffer 1
		.amdhsa_user_sgpr_dispatch_ptr 0
		.amdhsa_user_sgpr_queue_ptr 0
		.amdhsa_user_sgpr_kernarg_segment_ptr 1
		.amdhsa_user_sgpr_dispatch_id 0
		.amdhsa_user_sgpr_flat_scratch_init 0
		.amdhsa_user_sgpr_kernarg_preload_length 0
		.amdhsa_user_sgpr_kernarg_preload_offset 0
		.amdhsa_user_sgpr_private_segment_size 0
		.amdhsa_uses_dynamic_stack 0
		.amdhsa_system_sgpr_private_segment_wavefront_offset 0
		.amdhsa_system_sgpr_workgroup_id_x 1
		.amdhsa_system_sgpr_workgroup_id_y 0
		.amdhsa_system_sgpr_workgroup_id_z 0
		.amdhsa_system_sgpr_workgroup_info 0
		.amdhsa_system_vgpr_workitem_id 0
		.amdhsa_next_free_vgpr 10
		.amdhsa_next_free_sgpr 24
		.amdhsa_accum_offset 12
		.amdhsa_reserve_vcc 1
		.amdhsa_reserve_flat_scratch 0
		.amdhsa_float_round_mode_32 0
		.amdhsa_float_round_mode_16_64 0
		.amdhsa_float_denorm_mode_32 3
		.amdhsa_float_denorm_mode_16_64 3
		.amdhsa_dx10_clamp 1
		.amdhsa_ieee_mode 1
		.amdhsa_fp16_overflow 0
		.amdhsa_tg_split 0
		.amdhsa_exception_fp_ieee_invalid_op 0
		.amdhsa_exception_fp_denorm_src 0
		.amdhsa_exception_fp_ieee_div_zero 0
		.amdhsa_exception_fp_ieee_overflow 0
		.amdhsa_exception_fp_ieee_underflow 0
		.amdhsa_exception_fp_ieee_inexact 0
		.amdhsa_exception_int_div_zero 0
	.end_amdhsa_kernel
	.section	.text._ZN9rocsolver6v33100L18stebz_case1_kernelIfPfEEv15rocblas_erange_T_S4_T0_ilPiS6_PS4_lS6_lS6_li,"axG",@progbits,_ZN9rocsolver6v33100L18stebz_case1_kernelIfPfEEv15rocblas_erange_T_S4_T0_ilPiS6_PS4_lS6_lS6_li,comdat
.Lfunc_end1:
	.size	_ZN9rocsolver6v33100L18stebz_case1_kernelIfPfEEv15rocblas_erange_T_S4_T0_ilPiS6_PS4_lS6_lS6_li, .Lfunc_end1-_ZN9rocsolver6v33100L18stebz_case1_kernelIfPfEEv15rocblas_erange_T_S4_T0_ilPiS6_PS4_lS6_lS6_li
                                        ; -- End function
	.section	.AMDGPU.csdata,"",@progbits
; Kernel info:
; codeLenInByte = 544
; NumSgprs: 28
; NumVgprs: 10
; NumAgprs: 0
; TotalNumVgprs: 10
; ScratchSize: 0
; MemoryBound: 0
; FloatMode: 240
; IeeeMode: 1
; LDSByteSize: 0 bytes/workgroup (compile time only)
; SGPRBlocks: 3
; VGPRBlocks: 1
; NumSGPRsForWavesPerEU: 28
; NumVGPRsForWavesPerEU: 10
; AccumOffset: 12
; Occupancy: 8
; WaveLimiterHint : 0
; COMPUTE_PGM_RSRC2:SCRATCH_EN: 0
; COMPUTE_PGM_RSRC2:USER_SGPR: 6
; COMPUTE_PGM_RSRC2:TRAP_HANDLER: 0
; COMPUTE_PGM_RSRC2:TGID_X_EN: 1
; COMPUTE_PGM_RSRC2:TGID_Y_EN: 0
; COMPUTE_PGM_RSRC2:TGID_Z_EN: 0
; COMPUTE_PGM_RSRC2:TIDIG_COMP_CNT: 0
; COMPUTE_PGM_RSRC3_GFX90A:ACCUM_OFFSET: 2
; COMPUTE_PGM_RSRC3_GFX90A:TG_SPLIT: 0
	.section	.text._ZN9rocsolver6v33100L22stebz_splitting_kernelIfPfEEv15rocblas_erange_iT_S4_iiT0_iiS5_iiPiPS4_lS6_lS6_S7_S7_S7_S7_S6_S4_S4_,"axG",@progbits,_ZN9rocsolver6v33100L22stebz_splitting_kernelIfPfEEv15rocblas_erange_iT_S4_iiT0_iiS5_iiPiPS4_lS6_lS6_S7_S7_S7_S7_S6_S4_S4_,comdat
	.globl	_ZN9rocsolver6v33100L22stebz_splitting_kernelIfPfEEv15rocblas_erange_iT_S4_iiT0_iiS5_iiPiPS4_lS6_lS6_S7_S7_S7_S7_S6_S4_S4_ ; -- Begin function _ZN9rocsolver6v33100L22stebz_splitting_kernelIfPfEEv15rocblas_erange_iT_S4_iiT0_iiS5_iiPiPS4_lS6_lS6_S7_S7_S7_S7_S6_S4_S4_
	.p2align	8
	.type	_ZN9rocsolver6v33100L22stebz_splitting_kernelIfPfEEv15rocblas_erange_iT_S4_iiT0_iiS5_iiPiPS4_lS6_lS6_S7_S7_S7_S7_S6_S4_S4_,@function
_ZN9rocsolver6v33100L22stebz_splitting_kernelIfPfEEv15rocblas_erange_iT_S4_iiT0_iiS5_iiPiPS4_lS6_lS6_S7_S7_S7_S7_S6_S4_S4_: ; @_ZN9rocsolver6v33100L22stebz_splitting_kernelIfPfEEv15rocblas_erange_iT_S4_iiT0_iiS5_iiPiPS4_lS6_lS6_S7_S7_S7_S7_S6_S4_S4_
; %bb.0:
	s_load_dwordx4 s[24:27], s[4:5], 0x0
	s_load_dwordx2 s[36:37], s[4:5], 0x10
	s_mov_b32 s34, s7
	v_mov_b32_e32 v2, 0
	v_mov_b32_e32 v6, 0
	s_waitcnt lgkmcnt(0)
	s_add_i32 s33, s25, -1
	s_ashr_i32 s0, s33, 31
	s_lshr_b32 s0, s0, 24
	s_add_i32 s0, s33, s0
	s_ashr_i32 s1, s0, 8
	s_and_b32 s0, s0, 0xffffff00
	s_sub_i32 s0, s33, s0
	v_mov_b32_e32 v1, s1
	v_cmp_gt_i32_e32 vcc, s0, v0
	v_addc_co_u32_e32 v16, vcc, 0, v1, vcc
	v_lshlrev_b32_e32 v1, 2, v0
	v_cmp_eq_u32_e64 s[0:1], 0, v0
	v_cmp_ne_u32_e32 vcc, 0, v0
	ds_write_b32 v1, v16
	s_waitcnt lgkmcnt(0)
	s_barrier
	s_and_saveexec_b64 s[6:7], vcc
	s_cbranch_execz .LBB2_16
; %bb.1:
	v_cmp_lt_u32_e64 s[2:3], 3, v0
	s_mov_b64 s[10:11], -1
	s_mov_b32 s12, 0
	v_mov_b32_e32 v6, 0
	v_mov_b32_e32 v3, 0
	s_and_saveexec_b64 s[8:9], s[2:3]
	s_cbranch_execz .LBB2_11
; %bb.2:
	v_add_u32_e32 v4, -4, v0
	v_lshrrev_b32_e32 v3, 2, v4
	s_mov_b32 s13, s12
	v_add_u32_e32 v3, 1, v3
	v_cmp_lt_u32_e64 s[2:3], 27, v4
	v_pk_mov_b32 v[6:7], s[12:13], s[12:13] op_sel:[0,1]
	v_mov_b32_e32 v9, 0
	v_pk_mov_b32 v[4:5], s[12:13], s[12:13] op_sel:[0,1]
	s_and_saveexec_b64 s[10:11], s[2:3]
	s_cbranch_execz .LBB2_6
; %bb.3:
	v_and_b32_e32 v8, 0x7ffffff8, v3
	s_mov_b32 s14, 0
	s_mov_b32 s15, 0
	s_mov_b64 s[12:13], 0
	v_mov_b32_e32 v4, 0
	v_mov_b32_e32 v5, 0
	;; [unrolled: 1-line block ×4, first 2 shown]
.LBB2_4:                                ; =>This Inner Loop Header: Depth=1
	v_mov_b32_e32 v9, s14
	ds_read_b128 v[10:13], v9
	ds_read_b128 v[18:21], v9 offset:16
	ds_read_b128 v[22:25], v9 offset:32
	;; [unrolled: 1-line block ×7, first 2 shown]
	s_waitcnt lgkmcnt(7)
	v_add_u32_e32 v4, v10, v4
	v_add_u32_e32 v5, v11, v5
	v_add_u32_e32 v6, v12, v6
	v_add_u32_e32 v7, v13, v7
	s_waitcnt lgkmcnt(6)
	v_add_u32_e32 v5, v19, v5
	v_add_u32_e32 v4, v18, v4
	v_add_u32_e32 v7, v21, v7
	v_add_u32_e32 v6, v20, v6
	;; [unrolled: 5-line block ×5, first 2 shown]
	v_add_u32_e32 v8, -8, v8
	s_waitcnt lgkmcnt(2)
	v_add_u32_e32 v5, v35, v5
	v_add_u32_e32 v4, v34, v4
	;; [unrolled: 1-line block ×4, first 2 shown]
	s_add_i32 s15, s15, 32
	s_addk_i32 s14, 0x80
	v_cmp_eq_u32_e64 s[2:3], 0, v8
	s_waitcnt lgkmcnt(1)
	v_add_u32_e32 v4, v38, v4
	v_add_u32_e32 v5, v39, v5
	;; [unrolled: 1-line block ×4, first 2 shown]
	v_mov_b32_e32 v9, s15
	s_or_b64 s[12:13], s[2:3], s[12:13]
	s_waitcnt lgkmcnt(0)
	v_add_u32_e32 v5, v43, v5
	v_add_u32_e32 v4, v42, v4
	;; [unrolled: 1-line block ×4, first 2 shown]
	s_andn2_b64 exec, exec, s[12:13]
	s_cbranch_execnz .LBB2_4
; %bb.5:
	s_or_b64 exec, exec, s[12:13]
.LBB2_6:
	s_or_b64 exec, exec, s[10:11]
	v_and_b32_e32 v3, 7, v3
	v_cmp_ne_u32_e64 s[2:3], 0, v3
	s_and_saveexec_b64 s[10:11], s[2:3]
	s_cbranch_execz .LBB2_10
; %bb.7:
	v_lshlrev_b32_e32 v8, 2, v9
	s_mov_b64 s[12:13], 0
.LBB2_8:                                ; =>This Inner Loop Header: Depth=1
	ds_read_b128 v[10:13], v8
	v_add_u32_e32 v3, -1, v3
	v_cmp_eq_u32_e64 s[2:3], 0, v3
	v_add_u32_e32 v8, 16, v8
	s_or_b64 s[12:13], s[2:3], s[12:13]
	s_waitcnt lgkmcnt(0)
	v_add_u32_e32 v5, v11, v5
	v_add_u32_e32 v4, v10, v4
	;; [unrolled: 1-line block ×4, first 2 shown]
	s_andn2_b64 exec, exec, s[12:13]
	s_cbranch_execnz .LBB2_8
; %bb.9:
	s_or_b64 exec, exec, s[12:13]
.LBB2_10:
	s_or_b64 exec, exec, s[10:11]
	v_and_b32_e32 v3, 0xfc, v0
	v_add_u32_e32 v5, v7, v5
	v_cmp_ne_u32_e64 s[2:3], v0, v3
	v_add3_u32 v6, v6, v4, v5
	s_orn2_b64 s[10:11], s[2:3], exec
.LBB2_11:
	s_or_b64 exec, exec, s[8:9]
	s_and_saveexec_b64 s[8:9], s[10:11]
	s_cbranch_execz .LBB2_15
; %bb.12:
	v_sub_u32_e32 v4, v0, v3
	v_lshlrev_b32_e32 v3, 2, v3
	s_mov_b64 s[10:11], 0
.LBB2_13:                               ; =>This Inner Loop Header: Depth=1
	ds_read_b32 v5, v3
	v_add_u32_e32 v4, -1, v4
	v_cmp_eq_u32_e64 s[2:3], 0, v4
	v_add_u32_e32 v3, 4, v3
	s_or_b64 s[10:11], s[2:3], s[10:11]
	s_waitcnt lgkmcnt(0)
	v_add_u32_e32 v6, v5, v6
	s_andn2_b64 exec, exec, s[10:11]
	s_cbranch_execnz .LBB2_13
; %bb.14:
	s_or_b64 exec, exec, s[10:11]
.LBB2_15:
	s_or_b64 exec, exec, s[8:9]
.LBB2_16:
	s_or_b64 exec, exec, s[6:7]
	s_load_dwordx4 s[28:31], s[4:5], 0x18
	s_load_dwordx16 s[8:23], s[4:5], 0x38
	s_load_dwordx2 s[38:39], s[4:5], 0x90
	s_mul_i32 s2, s34, s25
	s_ashr_i32 s3, s2, 31
	s_waitcnt lgkmcnt(0)
	s_ashr_i32 s41, s30, 31
	s_mov_b32 s40, s30
	s_mul_i32 s30, s33, s34
	s_ashr_i32 s35, s34, 31
	s_mul_hi_i32 s43, s31, s34
	s_mul_i32 s42, s31, s34
	s_ashr_i32 s31, s30, 31
	s_lshl_b64 s[2:3], s[2:3], 2
	s_add_u32 s2, s18, s2
	v_ashrrev_i32_e32 v7, 31, v6
	s_addc_u32 s3, s19, s3
	v_lshlrev_b64 v[14:15], 2, v[6:7]
	s_mul_i32 s6, s34, s13
	s_mul_hi_u32 s7, s34, s12
	v_mov_b32_e32 v3, s3
	v_add_co_u32_e64 v4, s[2:3], s2, v14
	s_add_i32 s6, s7, s6
	s_mul_i32 s7, s35, s12
	v_addc_co_u32_e64 v5, s[2:3], v3, v15, s[2:3]
	s_add_i32 s19, s6, s7
	s_mul_i32 s18, s34, s12
	v_cmp_lt_i32_e64 s[2:3], 0, v16
	s_and_saveexec_b64 s[6:7], s[2:3]
	s_cbranch_execz .LBB2_22
; %bb.17:
	s_load_dwordx4 s[44:47], s[4:5], 0x28
	v_mov_b32_e32 v7, s39
	s_waitcnt lgkmcnt(0)
	s_ashr_i32 s3, s46, 31
	s_mov_b32 s2, s46
	s_mul_hi_i32 s13, s34, s47
	s_mul_i32 s12, s34, s47
	s_lshl_b64 s[12:13], s[12:13], 2
	s_lshl_b64 s[2:3], s[2:3], 2
	s_add_u32 s2, s12, s2
	s_addc_u32 s3, s13, s3
	s_add_u32 s2, s44, s2
	s_addc_u32 s3, s45, s3
	v_mov_b32_e32 v2, s3
	v_add_co_u32_e64 v8, s[2:3], s2, v14
	v_addc_co_u32_e64 v9, s[2:3], v2, v15, s[2:3]
	s_lshl_b64 s[2:3], s[42:43], 2
	s_lshl_b64 s[12:13], s[40:41], 2
	s_add_u32 s2, s2, s12
	s_addc_u32 s3, s3, s13
	s_add_u32 s2, s28, s2
	s_addc_u32 s3, s29, s3
	v_mov_b32_e32 v2, s3
	v_add_co_u32_e64 v10, s[2:3], s2, v14
	v_addc_co_u32_e64 v11, s[2:3], v2, v15, s[2:3]
	s_lshl_b64 s[2:3], s[30:31], 2
	s_add_u32 s2, s22, s2
	s_addc_u32 s3, s23, s3
	v_mov_b32_e32 v2, s3
	v_add_co_u32_e64 v12, s[2:3], s2, v14
	v_addc_co_u32_e64 v13, s[2:3], v2, v15, s[2:3]
	s_lshl_b64 s[2:3], s[18:19], 2
	s_add_u32 s2, s10, s2
	s_addc_u32 s3, s11, s3
	v_mov_b32_e32 v2, s3
	v_add_co_u32_e64 v14, s[2:3], s2, v14
	v_addc_co_u32_e64 v15, s[2:3], v2, v15, s[2:3]
	s_mov_b64 s[12:13], 0
	v_mov_b32_e32 v2, 0
	s_branch .LBB2_19
.LBB2_18:                               ;   in Loop: Header=BB2_19 Depth=1
	s_or_b64 exec, exec, s[44:45]
	v_add_co_u32_e64 v8, s[2:3], 4, v8
	v_addc_co_u32_e64 v9, s[2:3], 0, v9, s[2:3]
	v_add_co_u32_e64 v10, s[2:3], 4, v10
	v_addc_co_u32_e64 v11, s[2:3], 0, v11, s[2:3]
	global_store_dword v[12:13], v17, off
	global_store_dword v[14:15], v3, off
	v_add_co_u32_e64 v12, s[2:3], 4, v12
	v_add_u32_e32 v16, -1, v16
	v_addc_co_u32_e64 v13, s[2:3], 0, v13, s[2:3]
	v_cmp_eq_u32_e64 s[2:3], 0, v16
	s_or_b64 s[12:13], s[2:3], s[12:13]
	v_add_co_u32_e64 v14, s[2:3], 4, v14
	v_add_u32_e32 v6, 1, v6
	v_addc_co_u32_e64 v15, s[2:3], 0, v15, s[2:3]
	s_andn2_b64 exec, exec, s[12:13]
	s_cbranch_execz .LBB2_21
.LBB2_19:                               ; =>This Inner Loop Header: Depth=1
	global_load_dword v3, v[8:9], off
	global_load_dwordx2 v[18:19], v[10:11], off
	s_waitcnt vmcnt(1)
	v_mul_f32_e32 v17, v3, v3
	s_waitcnt vmcnt(0)
	v_mul_f32_e32 v18, v18, v19
	v_mul_f32_e64 v18, |v18|, s38
	v_fma_f32 v18, s38, v18, v7
	v_cmp_gt_f32_e64 s[2:3], v18, v17
	s_and_saveexec_b64 s[44:45], s[2:3]
	s_cbranch_execz .LBB2_18
; %bb.20:                               ;   in Loop: Header=BB2_19 Depth=1
	v_ashrrev_i32_e32 v3, 31, v2
	v_add_u32_e32 v18, 1, v2
	v_lshlrev_b64 v[2:3], 2, v[2:3]
	v_add_co_u32_e64 v2, s[2:3], v4, v2
	v_addc_co_u32_e64 v3, s[2:3], v5, v3, s[2:3]
	global_store_dword v[2:3], v6, off
	v_mov_b32_e32 v17, 0
	v_mov_b32_e32 v3, 0
	v_mov_b32_e32 v2, v18
	s_branch .LBB2_18
.LBB2_21:
	s_or_b64 exec, exec, s[12:13]
.LBB2_22:
	s_or_b64 exec, exec, s[6:7]
	v_mov_b32_e32 v6, 0
	ds_write_b32 v1, v2
	s_waitcnt lgkmcnt(0)
	s_barrier
	s_and_saveexec_b64 s[2:3], vcc
	s_cbranch_execz .LBB2_38
; %bb.23:
	v_cmp_lt_u32_e32 vcc, 3, v0
	s_mov_b64 s[12:13], -1
	s_mov_b32 s44, 0
	v_mov_b32_e32 v6, 0
	v_mov_b32_e32 v3, 0
	s_and_saveexec_b64 s[6:7], vcc
	s_cbranch_execz .LBB2_33
; %bb.24:
	v_add_u32_e32 v6, -4, v0
	v_lshrrev_b32_e32 v3, 2, v6
	s_mov_b32 s45, s44
	v_add_u32_e32 v3, 1, v3
	v_cmp_lt_u32_e32 vcc, 27, v6
	v_pk_mov_b32 v[8:9], s[44:45], s[44:45] op_sel:[0,1]
	v_mov_b32_e32 v11, 0
	v_pk_mov_b32 v[6:7], s[44:45], s[44:45] op_sel:[0,1]
	s_and_saveexec_b64 s[12:13], vcc
	s_cbranch_execz .LBB2_28
; %bb.25:
	v_and_b32_e32 v10, 0x7ffffff8, v3
	s_mov_b32 s46, 0
	s_mov_b32 s47, 0
	s_mov_b64 s[44:45], 0
	v_mov_b32_e32 v6, 0
	v_mov_b32_e32 v7, 0
	;; [unrolled: 1-line block ×4, first 2 shown]
.LBB2_26:                               ; =>This Inner Loop Header: Depth=1
	v_mov_b32_e32 v11, s46
	ds_read_b128 v[12:15], v11
	ds_read_b128 v[16:19], v11 offset:16
	ds_read_b128 v[20:23], v11 offset:32
	;; [unrolled: 1-line block ×7, first 2 shown]
	s_waitcnt lgkmcnt(7)
	v_add_u32_e32 v6, v12, v6
	v_add_u32_e32 v7, v13, v7
	v_add_u32_e32 v8, v14, v8
	v_add_u32_e32 v9, v15, v9
	s_waitcnt lgkmcnt(6)
	v_add_u32_e32 v7, v17, v7
	v_add_u32_e32 v6, v16, v6
	v_add_u32_e32 v9, v19, v9
	v_add_u32_e32 v8, v18, v8
	;; [unrolled: 5-line block ×5, first 2 shown]
	v_add_u32_e32 v10, -8, v10
	s_waitcnt lgkmcnt(2)
	v_add_u32_e32 v7, v33, v7
	v_add_u32_e32 v6, v32, v6
	;; [unrolled: 1-line block ×4, first 2 shown]
	s_add_i32 s47, s47, 32
	s_addk_i32 s46, 0x80
	v_cmp_eq_u32_e32 vcc, 0, v10
	s_waitcnt lgkmcnt(1)
	v_add_u32_e32 v6, v36, v6
	v_add_u32_e32 v7, v37, v7
	;; [unrolled: 1-line block ×4, first 2 shown]
	v_mov_b32_e32 v11, s47
	s_or_b64 s[44:45], vcc, s[44:45]
	s_waitcnt lgkmcnt(0)
	v_add_u32_e32 v7, v41, v7
	v_add_u32_e32 v6, v40, v6
	;; [unrolled: 1-line block ×4, first 2 shown]
	s_andn2_b64 exec, exec, s[44:45]
	s_cbranch_execnz .LBB2_26
; %bb.27:
	s_or_b64 exec, exec, s[44:45]
.LBB2_28:
	s_or_b64 exec, exec, s[12:13]
	v_and_b32_e32 v3, 7, v3
	v_cmp_ne_u32_e32 vcc, 0, v3
	s_and_saveexec_b64 s[12:13], vcc
	s_cbranch_execz .LBB2_32
; %bb.29:
	v_lshlrev_b32_e32 v10, 2, v11
	s_mov_b64 s[44:45], 0
.LBB2_30:                               ; =>This Inner Loop Header: Depth=1
	ds_read_b128 v[12:15], v10
	v_add_u32_e32 v3, -1, v3
	v_cmp_eq_u32_e32 vcc, 0, v3
	v_add_u32_e32 v10, 16, v10
	s_or_b64 s[44:45], vcc, s[44:45]
	s_waitcnt lgkmcnt(0)
	v_add_u32_e32 v7, v13, v7
	v_add_u32_e32 v6, v12, v6
	;; [unrolled: 1-line block ×4, first 2 shown]
	s_andn2_b64 exec, exec, s[44:45]
	s_cbranch_execnz .LBB2_30
; %bb.31:
	s_or_b64 exec, exec, s[44:45]
.LBB2_32:
	s_or_b64 exec, exec, s[12:13]
	v_and_b32_e32 v3, 0xfc, v0
	v_add_u32_e32 v7, v9, v7
	v_cmp_ne_u32_e32 vcc, v0, v3
	v_add3_u32 v6, v8, v6, v7
	s_orn2_b64 s[12:13], vcc, exec
.LBB2_33:
	s_or_b64 exec, exec, s[6:7]
	s_and_saveexec_b64 s[6:7], s[12:13]
	s_cbranch_execz .LBB2_37
; %bb.34:
	v_sub_u32_e32 v7, v0, v3
	v_lshlrev_b32_e32 v3, 2, v3
	s_mov_b64 s[12:13], 0
.LBB2_35:                               ; =>This Inner Loop Header: Depth=1
	ds_read_b32 v8, v3
	v_add_u32_e32 v7, -1, v7
	v_cmp_eq_u32_e32 vcc, 0, v7
	v_add_u32_e32 v3, 4, v3
	s_or_b64 s[12:13], vcc, s[12:13]
	s_waitcnt lgkmcnt(0)
	v_add_u32_e32 v6, v8, v6
	s_andn2_b64 exec, exec, s[12:13]
	s_cbranch_execnz .LBB2_35
; %bb.36:
	s_or_b64 exec, exec, s[12:13]
.LBB2_37:
	s_or_b64 exec, exec, s[6:7]
.LBB2_38:
	s_or_b64 exec, exec, s[2:3]
	s_mul_i32 s2, s34, s17
	s_mul_hi_u32 s3, s34, s16
	s_add_i32 s2, s3, s2
	s_mul_i32 s3, s35, s16
	s_add_i32 s7, s2, s3
	s_mul_i32 s6, s34, s16
	v_cmp_lt_i32_e32 vcc, 0, v2
	s_and_saveexec_b64 s[2:3], vcc
	s_cbranch_execz .LBB2_41
; %bb.39:
	s_lshl_b64 s[12:13], s[6:7], 2
	v_ashrrev_i32_e32 v7, 31, v6
	s_add_u32 s12, s14, s12
	v_lshlrev_b64 v[8:9], 2, v[6:7]
	s_addc_u32 s13, s15, s13
	v_mov_b32_e32 v3, s13
	v_add_co_u32_e32 v8, vcc, s12, v8
	v_addc_co_u32_e32 v9, vcc, v3, v9, vcc
	s_mov_b64 s[12:13], 0
	v_mov_b32_e32 v3, v2
.LBB2_40:                               ; =>This Inner Loop Header: Depth=1
	global_load_dword v7, v[4:5], off
	v_add_co_u32_e32 v4, vcc, 4, v4
	v_add_u32_e32 v3, -1, v3
	v_addc_co_u32_e32 v5, vcc, 0, v5, vcc
	v_cmp_eq_u32_e32 vcc, 0, v3
	s_or_b64 s[12:13], vcc, s[12:13]
	s_waitcnt vmcnt(0)
	v_add_u32_e32 v7, 1, v7
	global_store_dword v[8:9], v7, off
	v_add_co_u32_e32 v8, vcc, 4, v8
	v_addc_co_u32_e32 v9, vcc, 0, v9, vcc
	s_andn2_b64 exec, exec, s[12:13]
	s_cbranch_execnz .LBB2_40
.LBB2_41:
	s_or_b64 exec, exec, s[2:3]
	s_movk_i32 s2, 0xff
	v_cmp_eq_u32_e64 s[2:3], s2, v0
	s_and_saveexec_b64 s[12:13], s[2:3]
	s_cbranch_execz .LBB2_43
; %bb.42:
	s_lshl_b64 s[16:17], s[34:35], 2
	s_add_u32 s8, s8, s16
	s_addc_u32 s9, s9, s17
	s_lshl_b64 s[6:7], s[6:7], 2
	v_add_u32_e32 v2, v6, v2
	s_add_u32 s6, s14, s6
	v_ashrrev_i32_e32 v3, 31, v2
	s_addc_u32 s7, s15, s7
	v_lshlrev_b64 v[4:5], 2, v[2:3]
	v_mov_b32_e32 v3, s7
	v_add_co_u32_e32 v4, vcc, s6, v4
	v_addc_co_u32_e32 v5, vcc, v3, v5, vcc
	v_mov_b32_e32 v3, s25
	v_mov_b32_e32 v7, 0
	v_add_u32_e32 v2, 1, v2
	global_store_dword v[4:5], v3, off
	global_store_dword v7, v2, s[8:9]
.LBB2_43:
	s_or_b64 exec, exec, s[12:13]
	v_cmp_gt_i32_e32 vcc, s33, v0
	v_bfrev_b32_e32 v5, -2
	v_mov_b32_e32 v4, 0
	s_barrier
	s_and_saveexec_b64 s[8:9], vcc
	s_cbranch_execz .LBB2_47
; %bb.44:
	s_lshl_b64 s[6:7], s[30:31], 2
	s_add_u32 s6, s22, s6
	s_addc_u32 s7, s23, s7
	v_mov_b32_e32 v3, s7
	v_add_co_u32_e32 v2, vcc, s6, v1
	v_mov_b32_e32 v4, 0
	v_addc_co_u32_e32 v3, vcc, 0, v3, vcc
	s_mov_b64 s[12:13], 0
	v_bfrev_b32_e32 v5, -2
	s_brev_b32 s14, -2
	v_mov_b32_e32 v6, v0
.LBB2_45:                               ; =>This Inner Loop Header: Depth=1
	global_load_dword v7, v[2:3], off
	v_add_co_u32_e32 v2, vcc, 0x400, v2
	v_cmp_eq_u32_e64 s[6:7], s14, v5
	v_add_u32_e32 v8, 1, v6
	v_add_u32_e32 v6, 0x100, v6
	v_addc_co_u32_e32 v3, vcc, 0, v3, vcc
	v_cmp_le_i32_e32 vcc, s33, v6
	s_waitcnt vmcnt(0)
	v_cmp_lt_f32_e64 s[16:17], v4, |v7|
	s_or_b64 s[6:7], s[16:17], s[6:7]
	v_cndmask_b32_e64 v4, v4, |v7|, s[6:7]
	s_or_b64 s[12:13], vcc, s[12:13]
	v_cndmask_b32_e64 v5, v5, v8, s[6:7]
	s_andn2_b64 exec, exec, s[12:13]
	s_cbranch_execnz .LBB2_45
; %bb.46:
	s_or_b64 exec, exec, s[12:13]
.LBB2_47:
	s_or_b64 exec, exec, s[8:9]
	s_cmp_lt_i32 s25, 3
	ds_write_b32 v1, v4 offset:1024
	ds_write_b32 v1, v5
	s_waitcnt lgkmcnt(0)
	s_barrier
	s_cbranch_scc1 .LBB2_82
; %bb.48:
	s_movk_i32 s6, 0x80
	v_or_b32_e32 v2, 0x400, v1
	v_cmp_gt_u32_e32 vcc, s6, v0
	s_and_saveexec_b64 s[8:9], vcc
	s_cbranch_execz .LBB2_54
; %bb.49:
	ds_read_b32 v3, v2 offset:512
	ds_read_b32 v6, v1 offset:512
	s_waitcnt lgkmcnt(1)
	v_cmp_lt_f32_e64 s[12:13], v4, v3
	v_cmp_nlt_f32_e32 vcc, v4, v3
	s_and_saveexec_b64 s[14:15], vcc
	s_cbranch_execz .LBB2_51
; %bb.50:
	v_cmp_eq_f32_e32 vcc, v4, v3
	s_waitcnt lgkmcnt(0)
	v_cmp_gt_i32_e64 s[6:7], v5, v6
	s_and_b64 s[6:7], vcc, s[6:7]
	s_andn2_b64 s[12:13], s[12:13], exec
	s_and_b64 s[6:7], s[6:7], exec
	s_or_b64 s[12:13], s[12:13], s[6:7]
.LBB2_51:
	s_or_b64 exec, exec, s[14:15]
	s_and_saveexec_b64 s[6:7], s[12:13]
	s_cbranch_execz .LBB2_53
; %bb.52:
	s_waitcnt lgkmcnt(0)
	v_mov_b32_e32 v5, v6
	v_mov_b32_e32 v4, v3
	ds_write_b32 v2, v3
	ds_write_b32 v1, v6
.LBB2_53:
	s_or_b64 exec, exec, s[6:7]
.LBB2_54:
	s_or_b64 exec, exec, s[8:9]
	v_cmp_gt_u32_e32 vcc, 64, v0
	s_waitcnt lgkmcnt(0)
	s_barrier
	s_and_saveexec_b64 s[12:13], vcc
	s_cbranch_execz .LBB2_81
; %bb.55:
	ds_read_b32 v3, v2 offset:256
	ds_read_b32 v6, v1 offset:256
	s_waitcnt lgkmcnt(1)
	v_cmp_lt_f32_e64 s[8:9], v4, v3
	v_cmp_nlt_f32_e32 vcc, v4, v3
	s_and_saveexec_b64 s[14:15], vcc
	s_cbranch_execz .LBB2_57
; %bb.56:
	v_cmp_eq_f32_e32 vcc, v4, v3
	s_waitcnt lgkmcnt(0)
	v_cmp_gt_i32_e64 s[6:7], v5, v6
	s_and_b64 s[6:7], vcc, s[6:7]
	s_andn2_b64 s[8:9], s[8:9], exec
	s_and_b64 s[6:7], s[6:7], exec
	s_or_b64 s[8:9], s[8:9], s[6:7]
.LBB2_57:
	s_or_b64 exec, exec, s[14:15]
	s_and_saveexec_b64 s[6:7], s[8:9]
	s_cbranch_execz .LBB2_59
; %bb.58:
	v_mov_b32_e32 v4, v3
	s_waitcnt lgkmcnt(0)
	v_mov_b32_e32 v5, v6
	ds_write_b32 v2, v3
	ds_write_b32 v1, v6
.LBB2_59:
	s_or_b64 exec, exec, s[6:7]
	ds_read_b32 v3, v2 offset:128
	s_waitcnt lgkmcnt(1)
	ds_read_b32 v6, v1 offset:128
	s_waitcnt lgkmcnt(1)
	v_cmp_lt_f32_e64 s[8:9], v4, v3
	v_cmp_nlt_f32_e32 vcc, v4, v3
	s_and_saveexec_b64 s[14:15], vcc
	s_cbranch_execz .LBB2_61
; %bb.60:
	v_cmp_eq_f32_e32 vcc, v4, v3
	s_waitcnt lgkmcnt(0)
	v_cmp_gt_i32_e64 s[6:7], v5, v6
	s_and_b64 s[6:7], vcc, s[6:7]
	s_andn2_b64 s[8:9], s[8:9], exec
	s_and_b64 s[6:7], s[6:7], exec
	s_or_b64 s[8:9], s[8:9], s[6:7]
.LBB2_61:
	s_or_b64 exec, exec, s[14:15]
	s_and_saveexec_b64 s[6:7], s[8:9]
	s_cbranch_execz .LBB2_63
; %bb.62:
	v_mov_b32_e32 v4, v3
	s_waitcnt lgkmcnt(0)
	v_mov_b32_e32 v5, v6
	ds_write_b32 v2, v3
	ds_write_b32 v1, v6
.LBB2_63:
	s_or_b64 exec, exec, s[6:7]
	ds_read_b32 v3, v2 offset:64
	s_waitcnt lgkmcnt(1)
	;; [unrolled: 28-line block ×6, first 2 shown]
	ds_read_b32 v6, v1 offset:4
	s_waitcnt lgkmcnt(1)
	v_cmp_eq_f32_e64 s[6:7], v4, v3
	s_waitcnt lgkmcnt(0)
	v_cmp_gt_i32_e64 s[8:9], v5, v6
	v_cmp_lt_f32_e32 vcc, v4, v3
	s_and_b64 s[6:7], s[6:7], s[8:9]
	s_or_b64 s[6:7], vcc, s[6:7]
	s_and_b64 exec, exec, s[6:7]
	s_cbranch_execz .LBB2_81
; %bb.80:
	ds_write_b32 v2, v3
	ds_write_b32 v1, v6
.LBB2_81:
	s_or_b64 exec, exec, s[12:13]
.LBB2_82:
	v_mov_b32_e32 v1, 0
	s_waitcnt lgkmcnt(0)
	s_barrier
	ds_read_b32 v1, v1 offset:1024
	s_load_dwordx4 s[12:15], s[4:5], 0x78
	s_load_dwordx2 s[16:17], s[4:5], 0x88
	v_mov_b32_e32 v2, s39
	s_cmpk_lg_i32 s24, 0xe9
	v_mov_b32_e32 v3, s27
	s_waitcnt lgkmcnt(0)
	v_mul_f32_e32 v1, s39, v1
	v_cmp_gt_f32_e32 vcc, s39, v1
	v_cndmask_b32_e32 v6, v1, v2, vcc
	v_mov_b32_e32 v2, s26
	s_cbranch_scc0 .LBB2_85
; %bb.83:
	s_and_saveexec_b64 s[2:3], s[0:1]
	s_cbranch_execnz .LBB2_136
.LBB2_84:
	s_endpgm
.LBB2_85:
	s_lshl_b64 s[42:43], s[42:43], 2
	s_add_u32 s4, s28, s42
	s_addc_u32 s5, s29, s43
	s_lshl_b64 s[40:41], s[40:41], 2
	s_add_u32 s44, s4, s40
	s_addc_u32 s45, s5, s41
	;; [unrolled: 3-line block ×4, first 2 shown]
	s_lshl_b32 s10, s25, 1
	s_mul_i32 s4, s10, s34
	s_ashr_i32 s5, s4, 31
	s_lshl_b64 s[18:19], s[4:5], 2
	s_add_u32 s8, s14, s18
	s_addc_u32 s9, s15, s19
	s_add_u32 s22, s16, s18
	s_addc_u32 s23, s17, s19
	v_mov_b32_e32 v3, s27
	v_mov_b32_e32 v2, s26
	s_and_saveexec_b64 s[6:7], s[0:1]
	s_cbranch_execz .LBB2_93
; %bb.86:
	v_mov_b32_e32 v5, 0
	global_load_dword v1, v5, s[44:45]
	global_load_dword v3, v5, s[46:47]
	s_cmp_gt_i32 s25, 1
	s_cselect_b64 s[26:27], -1, 0
	s_cmp_lt_i32 s25, 2
	s_waitcnt vmcnt(0)
	v_sub_f32_e64 v2, v1, |v3|
	v_sub_f32_e32 v7, v1, v2
	v_cmp_le_f32_e32 vcc, v7, v6
	v_cndmask_b32_e64 v4, 0, 1, vcc
	s_cbranch_scc1 .LBB2_89
; %bb.87:
	v_cmp_gt_f32_e64 s[4:5], v7, -v6
	s_and_b64 s[4:5], vcc, s[4:5]
	v_cndmask_b32_e64 v7, v7, -v6, s[4:5]
	s_add_u32 s4, s42, s40
	s_addc_u32 s5, s43, s41
	s_add_u32 s4, s4, s28
	s_addc_u32 s5, s5, s29
	;; [unrolled: 2-line block ×3, first 2 shown]
	s_mov_b64 s[50:51], s[30:31]
	s_mov_b32 s11, s33
.LBB2_88:                               ; =>This Inner Loop Header: Depth=1
	global_load_dword v8, v5, s[48:49]
	global_load_dword v9, v5, s[50:51]
	s_add_i32 s11, s11, -1
	s_waitcnt vmcnt(1)
	v_sub_f32_e32 v8, v8, v2
	s_waitcnt vmcnt(0)
	v_div_scale_f32 v10, s[4:5], v7, v7, v9
	v_rcp_f32_e32 v12, v10
	v_div_scale_f32 v11, vcc, v9, v7, v9
	v_fma_f32 v13, -v10, v12, 1.0
	v_fmac_f32_e32 v12, v13, v12
	v_mul_f32_e32 v13, v11, v12
	v_fma_f32 v14, -v10, v13, v11
	v_fmac_f32_e32 v13, v14, v12
	v_fma_f32 v10, -v10, v13, v11
	v_div_fmas_f32 v10, v10, v12, v13
	v_div_fixup_f32 v7, v10, v7, v9
	v_sub_f32_e32 v7, v8, v7
	v_cmp_le_f32_e32 vcc, v7, v6
	v_cmp_gt_f32_e64 s[52:53], v7, -v6
	v_addc_co_u32_e64 v4, s[4:5], 0, v4, vcc
	s_and_b64 s[4:5], vcc, s[52:53]
	s_add_u32 s50, s50, 4
	s_addc_u32 s51, s51, 0
	s_add_u32 s48, s48, 4
	s_addc_u32 s49, s49, 0
	s_cmp_lg_u32 s11, 0
	v_cndmask_b32_e64 v7, v7, -v6, s[4:5]
	s_cbranch_scc1 .LBB2_88
.LBB2_89:
	v_and_b32_e32 v3, 0x7fffffff, v3
	v_add_f32_e32 v3, v1, v3
	v_sub_f32_e32 v1, v1, v3
	v_cmp_le_f32_e64 s[4:5], v1, v6
	s_andn2_b64 vcc, exec, s[26:27]
	v_cndmask_b32_e64 v5, 0, 1, s[4:5]
	s_cbranch_vccnz .LBB2_92
; %bb.90:
	v_cmp_gt_f32_e64 s[26:27], v1, -v6
	s_and_b64 s[4:5], s[4:5], s[26:27]
	v_cndmask_b32_e64 v7, v1, -v6, s[4:5]
	s_add_u32 s4, s42, s40
	s_addc_u32 s5, s43, s41
	s_add_u32 s4, s4, s28
	s_addc_u32 s5, s5, s29
	;; [unrolled: 2-line block ×3, first 2 shown]
	v_mov_b32_e32 v1, 0
	s_mov_b64 s[48:49], s[30:31]
	s_mov_b32 s11, s33
.LBB2_91:                               ; =>This Inner Loop Header: Depth=1
	global_load_dword v8, v1, s[26:27]
	global_load_dword v9, v1, s[48:49]
	s_add_i32 s11, s11, -1
	s_waitcnt vmcnt(1)
	v_sub_f32_e32 v8, v8, v3
	s_waitcnt vmcnt(0)
	v_div_scale_f32 v10, s[4:5], v7, v7, v9
	v_rcp_f32_e32 v12, v10
	v_div_scale_f32 v11, vcc, v9, v7, v9
	v_fma_f32 v13, -v10, v12, 1.0
	v_fmac_f32_e32 v12, v13, v12
	v_mul_f32_e32 v13, v11, v12
	v_fma_f32 v14, -v10, v13, v11
	v_fmac_f32_e32 v13, v14, v12
	v_fma_f32 v10, -v10, v13, v11
	v_div_fmas_f32 v10, v10, v12, v13
	v_div_fixup_f32 v7, v10, v7, v9
	v_sub_f32_e32 v7, v8, v7
	v_cmp_le_f32_e32 vcc, v7, v6
	v_cmp_gt_f32_e64 s[50:51], v7, -v6
	v_addc_co_u32_e64 v5, s[4:5], 0, v5, vcc
	s_and_b64 s[4:5], vcc, s[50:51]
	s_add_u32 s48, s48, 4
	s_addc_u32 s49, s49, 0
	s_add_u32 s26, s26, 4
	s_addc_u32 s27, s27, 0
	s_cmp_lg_u32 s11, 0
	v_cndmask_b32_e64 v7, v7, -v6, s[4:5]
	s_cbranch_scc1 .LBB2_91
.LBB2_92:
	v_mov_b32_e32 v1, 0
	global_store_dwordx2 v1, v[2:3], s[8:9]
	global_store_dwordx2 v1, v[4:5], s[22:23]
.LBB2_93:
	s_or_b64 exec, exec, s[6:7]
	v_add_u32_e32 v0, 1, v0
	v_cmp_gt_i32_e32 vcc, s33, v0
	s_and_saveexec_b64 s[26:27], vcc
	s_cbranch_execz .LBB2_103
; %bb.94:
	s_cmp_gt_i32 s25, 1
	s_cselect_b64 s[4:5], -1, 0
	s_add_u32 s11, s46, -4
	s_addc_u32 s6, s47, -1
	s_add_u32 s7, s42, s40
	s_addc_u32 s39, s43, s41
	s_add_u32 s7, s7, s28
	s_addc_u32 s39, s39, s29
	s_add_u32 s48, s7, 4
	v_cndmask_b32_e64 v2, 0, 1, s[4:5]
	s_addc_u32 s49, s39, 0
	s_mov_b64 s[50:51], 0
	v_mov_b32_e32 v1, 0
	v_mov_b32_e32 v7, s45
	;; [unrolled: 1-line block ×3, first 2 shown]
	v_cmp_ne_u32_e64 s[4:5], 1, v2
	v_mov_b32_e32 v9, s9
	v_mov_b32_e32 v10, s23
	s_branch .LBB2_96
.LBB2_95:                               ;   in Loop: Header=BB2_96 Depth=1
	v_lshlrev_b32_e32 v12, 1, v0
	v_mov_b32_e32 v13, v1
	v_lshlrev_b64 v[12:13], 2, v[12:13]
	v_add_co_u32_e32 v14, vcc, s8, v12
	v_addc_co_u32_e32 v15, vcc, v9, v13, vcc
	v_add_co_u32_e32 v12, vcc, s22, v12
	v_addc_co_u32_e32 v13, vcc, v10, v13, vcc
	v_add_u32_e32 v0, 0x100, v0
	v_cmp_le_i32_e32 vcc, s33, v0
	s_or_b64 s[50:51], vcc, s[50:51]
	global_store_dwordx2 v[14:15], v[2:3], off
	global_store_dwordx2 v[12:13], v[4:5], off
	s_andn2_b64 exec, exec, s[50:51]
	s_cbranch_execz .LBB2_102
.LBB2_96:                               ; =>This Loop Header: Depth=1
                                        ;     Child Loop BB2_98 Depth 2
                                        ;     Child Loop BB2_101 Depth 2
	v_lshlrev_b64 v[2:3], 2, v[0:1]
	v_add_co_u32_e32 v4, vcc, s44, v2
	v_addc_co_u32_e32 v5, vcc, v7, v3, vcc
	v_add_co_u32_e32 v2, vcc, s11, v2
	v_addc_co_u32_e32 v3, vcc, v8, v3, vcc
	global_load_dwordx2 v[12:13], v[2:3], off
	s_nop 0
	global_load_dword v3, v[4:5], off
	s_nop 0
	global_load_dword v5, v1, s[44:45]
	s_and_b64 vcc, exec, s[4:5]
	s_waitcnt vmcnt(2)
	v_add_f32_e64 v11, |v13|, |v12|
	s_waitcnt vmcnt(1)
	v_sub_f32_e32 v2, v3, v11
	s_waitcnt vmcnt(0)
	v_sub_f32_e32 v12, v5, v2
	v_cmp_le_f32_e64 s[6:7], v12, v6
	v_cndmask_b32_e64 v4, 0, 1, s[6:7]
	s_cbranch_vccnz .LBB2_99
; %bb.97:                               ;   in Loop: Header=BB2_96 Depth=1
	v_cmp_gt_f32_e64 s[52:53], v12, -v6
	s_and_b64 s[6:7], s[6:7], s[52:53]
	v_cndmask_b32_e64 v12, v12, -v6, s[6:7]
	s_mov_b64 s[52:53], s[48:49]
	s_mov_b64 s[54:55], s[30:31]
	s_mov_b32 s39, s33
.LBB2_98:                               ;   Parent Loop BB2_96 Depth=1
                                        ; =>  This Inner Loop Header: Depth=2
	global_load_dword v13, v1, s[52:53]
	global_load_dword v14, v1, s[54:55]
	s_add_i32 s39, s39, -1
	s_waitcnt vmcnt(1)
	v_sub_f32_e32 v13, v13, v2
	s_waitcnt vmcnt(0)
	v_div_scale_f32 v15, s[6:7], v12, v12, v14
	v_rcp_f32_e32 v17, v15
	v_div_scale_f32 v16, vcc, v14, v12, v14
	v_fma_f32 v18, -v15, v17, 1.0
	v_fmac_f32_e32 v17, v18, v17
	v_mul_f32_e32 v18, v16, v17
	v_fma_f32 v19, -v15, v18, v16
	v_fmac_f32_e32 v18, v19, v17
	v_fma_f32 v15, -v15, v18, v16
	v_div_fmas_f32 v15, v15, v17, v18
	v_div_fixup_f32 v12, v15, v12, v14
	v_sub_f32_e32 v12, v13, v12
	v_cmp_le_f32_e32 vcc, v12, v6
	v_cmp_gt_f32_e64 s[56:57], v12, -v6
	v_addc_co_u32_e64 v4, s[6:7], 0, v4, vcc
	s_and_b64 s[6:7], vcc, s[56:57]
	s_add_u32 s54, s54, 4
	s_addc_u32 s55, s55, 0
	s_add_u32 s52, s52, 4
	s_addc_u32 s53, s53, 0
	s_cmp_lg_u32 s39, 0
	v_cndmask_b32_e64 v12, v12, -v6, s[6:7]
	s_cbranch_scc1 .LBB2_98
.LBB2_99:                               ;   in Loop: Header=BB2_96 Depth=1
	v_add_f32_e32 v3, v3, v11
	v_sub_f32_e32 v11, v5, v3
	v_cmp_le_f32_e64 s[6:7], v11, v6
	s_and_b64 vcc, exec, s[4:5]
	v_cndmask_b32_e64 v5, 0, 1, s[6:7]
	s_cbranch_vccnz .LBB2_95
; %bb.100:                              ;   in Loop: Header=BB2_96 Depth=1
	v_cmp_gt_f32_e64 s[52:53], v11, -v6
	s_and_b64 s[6:7], s[6:7], s[52:53]
	v_cndmask_b32_e64 v11, v11, -v6, s[6:7]
	s_mov_b64 s[52:53], s[48:49]
	s_mov_b64 s[54:55], s[30:31]
	s_mov_b32 s39, s33
.LBB2_101:                              ;   Parent Loop BB2_96 Depth=1
                                        ; =>  This Inner Loop Header: Depth=2
	global_load_dword v12, v1, s[52:53]
	global_load_dword v13, v1, s[54:55]
	s_add_i32 s39, s39, -1
	s_waitcnt vmcnt(1)
	v_sub_f32_e32 v12, v12, v3
	s_waitcnt vmcnt(0)
	v_div_scale_f32 v14, s[6:7], v11, v11, v13
	v_rcp_f32_e32 v16, v14
	v_div_scale_f32 v15, vcc, v13, v11, v13
	v_fma_f32 v17, -v14, v16, 1.0
	v_fmac_f32_e32 v16, v17, v16
	v_mul_f32_e32 v17, v15, v16
	v_fma_f32 v18, -v14, v17, v15
	v_fmac_f32_e32 v17, v18, v16
	v_fma_f32 v14, -v14, v17, v15
	v_div_fmas_f32 v14, v14, v16, v17
	v_div_fixup_f32 v11, v14, v11, v13
	v_sub_f32_e32 v11, v12, v11
	v_cmp_le_f32_e32 vcc, v11, v6
	v_cmp_gt_f32_e64 s[56:57], v11, -v6
	v_addc_co_u32_e64 v5, s[6:7], 0, v5, vcc
	s_and_b64 s[6:7], vcc, s[56:57]
	s_add_u32 s54, s54, 4
	s_addc_u32 s55, s55, 0
	s_add_u32 s52, s52, 4
	s_addc_u32 s53, s53, 0
	s_cmp_lg_u32 s39, 0
	v_cndmask_b32_e64 v11, v11, -v6, s[6:7]
	s_cbranch_scc1 .LBB2_101
	s_branch .LBB2_95
.LBB2_102:
	s_or_b64 exec, exec, s[50:51]
.LBB2_103:
	s_or_b64 exec, exec, s[26:27]
	s_and_saveexec_b64 s[4:5], s[2:3]
	s_cbranch_execz .LBB2_111
; %bb.104:
	s_ashr_i32 s3, s25, 31
	s_mov_b32 s2, s25
	s_lshl_b64 s[2:3], s[2:3], 2
	s_add_u32 s6, s44, s2
	s_addc_u32 s7, s45, s3
	s_add_u32 s2, s46, s2
	v_mov_b32_e32 v5, 0
	s_addc_u32 s3, s47, s3
	global_load_dword v3, v5, s[2:3] offset:-8
	global_load_dword v1, v5, s[6:7] offset:-4
	global_load_dword v4, v5, s[44:45]
	s_cmp_gt_i32 s25, 1
	s_cselect_b64 s[6:7], -1, 0
	s_cmp_lt_i32 s25, 2
	s_waitcnt vmcnt(1)
	v_sub_f32_e64 v2, v1, |v3|
	s_waitcnt vmcnt(0)
	v_sub_f32_e32 v7, v4, v2
	v_cmp_le_f32_e32 vcc, v7, v6
	v_cndmask_b32_e64 v0, 0, 1, vcc
	s_cbranch_scc1 .LBB2_107
; %bb.105:
	v_cmp_gt_f32_e64 s[2:3], v7, -v6
	s_and_b64 s[2:3], vcc, s[2:3]
	v_cndmask_b32_e64 v7, v7, -v6, s[2:3]
	s_add_u32 s2, s42, s40
	s_addc_u32 s3, s43, s41
	s_add_u32 s2, s2, s28
	s_addc_u32 s3, s3, s29
	;; [unrolled: 2-line block ×3, first 2 shown]
	s_mov_b64 s[44:45], s[30:31]
	s_mov_b32 s11, s33
.LBB2_106:                              ; =>This Inner Loop Header: Depth=1
	global_load_dword v8, v5, s[26:27]
	global_load_dword v9, v5, s[44:45]
	s_add_i32 s11, s11, -1
	s_waitcnt vmcnt(1)
	v_sub_f32_e32 v8, v8, v2
	s_waitcnt vmcnt(0)
	v_div_scale_f32 v10, s[2:3], v7, v7, v9
	v_rcp_f32_e32 v12, v10
	v_div_scale_f32 v11, vcc, v9, v7, v9
	v_fma_f32 v13, -v10, v12, 1.0
	v_fmac_f32_e32 v12, v13, v12
	v_mul_f32_e32 v13, v11, v12
	v_fma_f32 v14, -v10, v13, v11
	v_fmac_f32_e32 v13, v14, v12
	v_fma_f32 v10, -v10, v13, v11
	v_div_fmas_f32 v10, v10, v12, v13
	v_div_fixup_f32 v7, v10, v7, v9
	v_sub_f32_e32 v7, v8, v7
	v_cmp_le_f32_e32 vcc, v7, v6
	v_cmp_gt_f32_e64 s[46:47], v7, -v6
	v_addc_co_u32_e64 v0, s[2:3], 0, v0, vcc
	s_and_b64 s[2:3], vcc, s[46:47]
	s_add_u32 s44, s44, 4
	s_addc_u32 s45, s45, 0
	s_add_u32 s26, s26, 4
	s_addc_u32 s27, s27, 0
	s_cmp_lg_u32 s11, 0
	v_cndmask_b32_e64 v7, v7, -v6, s[2:3]
	s_cbranch_scc1 .LBB2_106
.LBB2_107:
	v_and_b32_e32 v3, 0x7fffffff, v3
	v_add_f32_e32 v3, v1, v3
	v_sub_f32_e32 v4, v4, v3
	v_cmp_le_f32_e64 s[2:3], v4, v6
	s_andn2_b64 vcc, exec, s[6:7]
	v_cndmask_b32_e64 v1, 0, 1, s[2:3]
	s_cbranch_vccnz .LBB2_110
; %bb.108:
	v_cmp_gt_f32_e64 s[6:7], v4, -v6
	s_and_b64 s[2:3], s[2:3], s[6:7]
	v_cndmask_b32_e64 v5, v4, -v6, s[2:3]
	s_add_u32 s2, s42, s40
	s_addc_u32 s3, s43, s41
	s_add_u32 s2, s2, s28
	s_addc_u32 s3, s3, s29
	;; [unrolled: 2-line block ×3, first 2 shown]
	v_mov_b32_e32 v4, 0
.LBB2_109:                              ; =>This Inner Loop Header: Depth=1
	global_load_dword v7, v4, s[6:7]
	global_load_dword v8, v4, s[30:31]
	s_add_i32 s33, s33, -1
	s_waitcnt vmcnt(1)
	v_sub_f32_e32 v7, v7, v3
	s_waitcnt vmcnt(0)
	v_div_scale_f32 v9, s[2:3], v5, v5, v8
	v_rcp_f32_e32 v11, v9
	v_div_scale_f32 v10, vcc, v8, v5, v8
	v_fma_f32 v12, -v9, v11, 1.0
	v_fmac_f32_e32 v11, v12, v11
	v_mul_f32_e32 v12, v10, v11
	v_fma_f32 v13, -v9, v12, v10
	v_fmac_f32_e32 v12, v13, v11
	v_fma_f32 v9, -v9, v12, v10
	v_div_fmas_f32 v9, v9, v11, v12
	v_div_fixup_f32 v5, v9, v5, v8
	v_sub_f32_e32 v5, v7, v5
	v_cmp_le_f32_e32 vcc, v5, v6
	v_cmp_gt_f32_e64 s[26:27], v5, -v6
	v_addc_co_u32_e64 v1, s[2:3], 0, v1, vcc
	s_and_b64 s[2:3], vcc, s[26:27]
	s_add_u32 s30, s30, 4
	s_addc_u32 s31, s31, 0
	s_add_u32 s6, s6, 4
	s_addc_u32 s7, s7, 0
	s_cmp_lg_u32 s33, 0
	v_cndmask_b32_e64 v5, v5, -v6, s[2:3]
	s_cbranch_scc1 .LBB2_109
.LBB2_110:
	s_ashr_i32 s11, s10, 31
	s_lshl_b64 s[2:3], s[10:11], 2
	s_add_u32 s6, s8, s2
	s_addc_u32 s7, s9, s3
	v_mov_b32_e32 v4, 0
	s_add_u32 s2, s22, s2
	s_addc_u32 s3, s23, s3
	global_store_dwordx2 v4, v[2:3], s[6:7] offset:-8
	global_store_dwordx2 v4, v[0:1], s[2:3] offset:-8
.LBB2_111:
	s_or_b64 exec, exec, s[4:5]
	s_barrier
	s_and_saveexec_b64 s[6:7], s[0:1]
	s_cbranch_execz .LBB2_135
; %bb.112:
	s_cmp_gt_i32 s25, 0
	s_cselect_b64 s[4:5], -1, 0
	s_cmp_lt_i32 s25, 1
	s_mov_b32 s26, 1
	s_cbranch_scc1 .LBB2_120
; %bb.113:
	s_cmp_lg_u64 s[16:17], 0
	s_cselect_b64 s[2:3], -1, 0
	s_add_u32 s11, s8, -4
	s_addc_u32 s33, s9, -1
	s_add_u32 s39, s22, -4
	s_addc_u32 s44, s23, -1
	s_add_u32 s14, s18, s14
	s_addc_u32 s15, s19, s15
	s_add_u32 s14, s14, 4
	v_cndmask_b32_e64 v1, 0, 1, s[2:3]
	s_addc_u32 s15, s15, 0
	v_mov_b32_e32 v0, 0
	v_cmp_ne_u32_e64 s[2:3], 1, v1
	s_branch .LBB2_115
.LBB2_114:                              ;   in Loop: Header=BB2_115 Depth=1
	s_add_i32 s26, s26, 1
	s_add_u32 s14, s14, 4
	s_addc_u32 s15, s15, 0
	s_cmp_lg_u32 s26, s10
	s_cbranch_scc0 .LBB2_120
.LBB2_115:                              ; =>This Loop Header: Depth=1
                                        ;     Child Loop BB2_116 Depth 2
	s_ashr_i32 s27, s26, 31
	s_add_i32 s41, s26, -1
	s_lshl_b64 s[28:29], s[26:27], 2
	s_add_u32 s30, s11, s28
	s_addc_u32 s31, s33, s29
	global_load_dword v1, v0, s[30:31]
	s_mov_b64 s[42:43], s[14:15]
	s_mov_b32 s27, s26
	s_mov_b32 s40, s41
	s_waitcnt vmcnt(0)
	v_mov_b32_e32 v2, v1
.LBB2_116:                              ;   Parent Loop BB2_115 Depth=1
                                        ; =>  This Inner Loop Header: Depth=2
	global_load_dword v3, v0, s[42:43]
	s_waitcnt vmcnt(0)
	v_cmp_lt_f32_e32 vcc, v3, v2
	s_and_b64 s[46:47], vcc, exec
	s_cselect_b32 s40, s27, s40
	s_add_i32 s27, s27, 1
	s_add_u32 s42, s42, 4
	s_addc_u32 s43, s43, 0
	v_cndmask_b32_e32 v2, v2, v3, vcc
	s_cmp_ge_i32 s27, s10
	s_cbranch_scc0 .LBB2_116
; %bb.117:                              ;   in Loop: Header=BB2_115 Depth=1
	s_cmp_lg_u32 s40, s41
	s_cbranch_scc0 .LBB2_114
; %bb.118:                              ;   in Loop: Header=BB2_115 Depth=1
	s_ashr_i32 s41, s40, 31
	s_lshl_b64 s[40:41], s[40:41], 2
	s_add_u32 s42, s8, s40
	s_addc_u32 s43, s9, s41
	s_and_b64 vcc, exec, s[2:3]
	global_store_dword v0, v1, s[42:43]
	global_store_dword v0, v2, s[30:31]
	s_cbranch_vccnz .LBB2_114
; %bb.119:                              ;   in Loop: Header=BB2_115 Depth=1
	s_add_u32 s28, s39, s28
	s_addc_u32 s29, s44, s29
	s_add_u32 s30, s22, s40
	s_addc_u32 s31, s23, s41
	global_load_dword v1, v0, s[28:29]
	global_load_dword v2, v0, s[30:31]
	s_waitcnt vmcnt(1)
	global_store_dword v0, v1, s[30:31]
	s_waitcnt vmcnt(1)
	global_store_dword v0, v2, s[28:29]
	s_branch .LBB2_114
.LBB2_120:
	s_ashr_i32 s11, s10, 31
	s_lshl_b64 s[2:3], s[10:11], 2
	v_mov_b32_e32 v0, 0
	s_add_u32 s14, s8, s2
	s_addc_u32 s15, s9, s3
	global_load_dword v1, v0, s[8:9]
	global_load_dword v2, v0, s[14:15] offset:-4
	v_cvt_f32_i32_e32 v3, s25
	v_cndmask_b32_e64 v4, 0, 1, s[4:5]
	s_andn2_b64 vcc, exec, s[4:5]
	v_cmp_ne_u32_e64 s[2:3], 1, v4
	s_waitcnt vmcnt(0)
	v_cmp_lt_f32_e64 s[4:5], |v1|, |v2|
	v_cndmask_b32_e64 v4, v1, v2, s[4:5]
	v_mul_f32_e64 v4, |v4|, s38
	v_fma_f32 v1, -v4, v3, v1
	v_fmac_f32_e32 v2, v4, v3
	v_sub_f32_e32 v1, v1, v6
	v_add_f32_e32 v2, v6, v2
	global_store_dword v0, v1, s[8:9]
	global_store_dword v0, v2, s[14:15] offset:-4
	s_cbranch_vccnz .LBB2_126
; %bb.121:
	s_max_i32 s11, s10, 2
	s_add_i32 s11, s11, -1
	s_add_u32 s4, s16, s18
	s_addc_u32 s5, s17, s19
	s_add_u32 s4, s4, 4
	s_addc_u32 s5, s5, 0
	s_mov_b32 s15, 0
	s_branch .LBB2_123
.LBB2_122:                              ;   in Loop: Header=BB2_123 Depth=1
	s_add_i32 s15, s15, 1
	s_add_u32 s4, s4, 4
	s_addc_u32 s5, s5, 0
	s_cmp_eq_u32 s11, s15
	s_cselect_b64 s[22:23], -1, 0
	s_mov_b32 s14, s11
	s_andn2_b64 vcc, exec, s[22:23]
	s_cbranch_vccz .LBB2_125
.LBB2_123:                              ; =>This Inner Loop Header: Depth=1
	global_load_dword v1, v0, s[4:5]
	s_mov_b64 s[22:23], -1
	s_waitcnt vmcnt(0)
	v_cmp_le_i32_e32 vcc, s36, v1
	s_cbranch_vccz .LBB2_122
; %bb.124:                              ;   in Loop: Header=BB2_123 Depth=1
                                        ; implicit-def: $sgpr4_sgpr5
	s_mov_b32 s14, s15
	s_andn2_b64 vcc, exec, s[22:23]
	s_cbranch_vccnz .LBB2_123
.LBB2_125:
	s_mov_b32 s15, 0
	s_branch .LBB2_127
.LBB2_126:
	s_mov_b64 s[14:15], 0
.LBB2_127:
	s_lshl_b64 s[4:5], s[14:15], 2
	s_add_u32 s4, s8, s4
	s_addc_u32 s5, s9, s5
	v_mov_b32_e32 v0, 0
	global_load_dword v2, v0, s[4:5]
	s_and_b64 vcc, exec, s[2:3]
	s_mov_b32 s5, 1
	s_cbranch_vccnz .LBB2_133
; %bb.128:
	s_max_i32 s14, s10, 2
	s_add_i32 s15, s14, -1
	s_add_u32 s2, s16, s18
	s_addc_u32 s3, s17, s19
	s_add_u32 s2, s2, 4
	s_addc_u32 s3, s3, 0
	s_branch .LBB2_130
.LBB2_129:                              ;   in Loop: Header=BB2_130 Depth=1
	s_mov_b32 s4, s5
                                        ; implicit-def: $sgpr2_sgpr3
	s_andn2_b64 vcc, exec, s[10:11]
	s_cbranch_vccz .LBB2_132
.LBB2_130:                              ; =>This Inner Loop Header: Depth=1
	global_load_dword v1, v0, s[2:3]
	s_mov_b64 s[10:11], -1
	s_waitcnt vmcnt(0)
	v_cmp_gt_i32_e32 vcc, s37, v1
	s_cbranch_vccz .LBB2_129
; %bb.131:                              ;   in Loop: Header=BB2_130 Depth=1
	s_add_i32 s5, s5, 1
	s_add_u32 s2, s2, 4
	s_addc_u32 s3, s3, 0
	s_cmp_eq_u32 s14, s5
	s_cselect_b64 s[10:11], -1, 0
	s_mov_b32 s4, s15
	s_andn2_b64 vcc, exec, s[10:11]
	s_cbranch_vccnz .LBB2_130
.LBB2_132:
	s_ashr_i32 s5, s4, 31
	s_branch .LBB2_134
.LBB2_133:
	s_mov_b64 s[4:5], 0
.LBB2_134:
	s_lshl_b64 s[2:3], s[4:5], 2
	s_add_u32 s2, s8, s2
	s_addc_u32 s3, s9, s3
	v_mov_b32_e32 v0, 0
	global_load_dword v3, v0, s[2:3]
.LBB2_135:
	s_or_b64 exec, exec, s[6:7]
	s_and_saveexec_b64 s[2:3], s[0:1]
	s_cbranch_execz .LBB2_84
.LBB2_136:
	s_lshl_b64 s[0:1], s[34:35], 2
	s_add_u32 s0, s20, s0
	s_addc_u32 s1, s21, s1
	s_lshl_b32 s2, s34, 1
	s_ashr_i32 s3, s2, 31
	s_lshl_b64 s[2:3], s[2:3], 2
	s_add_u32 s2, s12, s2
	s_addc_u32 s3, s13, s3
	s_cmpk_eq_i32 s24, 0xe7
	v_mov_b32_e32 v4, 0
	s_cselect_b64 s[4:5], -1, 0
	s_waitcnt vmcnt(0)
	v_cndmask_b32_e64 v1, v3, 0, s[4:5]
	v_cndmask_b32_e64 v0, v2, 0, s[4:5]
	global_store_dword v4, v6, s[0:1]
	global_store_dwordx2 v4, v[0:1], s[2:3]
	s_endpgm
	.section	.rodata,"a",@progbits
	.p2align	6, 0x0
	.amdhsa_kernel _ZN9rocsolver6v33100L22stebz_splitting_kernelIfPfEEv15rocblas_erange_iT_S4_iiT0_iiS5_iiPiPS4_lS6_lS6_S7_S7_S7_S7_S6_S4_S4_
		.amdhsa_group_segment_fixed_size 2048
		.amdhsa_private_segment_fixed_size 0
		.amdhsa_kernarg_size 152
		.amdhsa_user_sgpr_count 6
		.amdhsa_user_sgpr_private_segment_buffer 1
		.amdhsa_user_sgpr_dispatch_ptr 0
		.amdhsa_user_sgpr_queue_ptr 0
		.amdhsa_user_sgpr_kernarg_segment_ptr 1
		.amdhsa_user_sgpr_dispatch_id 0
		.amdhsa_user_sgpr_flat_scratch_init 0
		.amdhsa_user_sgpr_kernarg_preload_length 0
		.amdhsa_user_sgpr_kernarg_preload_offset 0
		.amdhsa_user_sgpr_private_segment_size 0
		.amdhsa_uses_dynamic_stack 0
		.amdhsa_system_sgpr_private_segment_wavefront_offset 0
		.amdhsa_system_sgpr_workgroup_id_x 1
		.amdhsa_system_sgpr_workgroup_id_y 1
		.amdhsa_system_sgpr_workgroup_id_z 0
		.amdhsa_system_sgpr_workgroup_info 0
		.amdhsa_system_vgpr_workitem_id 0
		.amdhsa_next_free_vgpr 46
		.amdhsa_next_free_sgpr 58
		.amdhsa_accum_offset 48
		.amdhsa_reserve_vcc 1
		.amdhsa_reserve_flat_scratch 0
		.amdhsa_float_round_mode_32 0
		.amdhsa_float_round_mode_16_64 0
		.amdhsa_float_denorm_mode_32 3
		.amdhsa_float_denorm_mode_16_64 3
		.amdhsa_dx10_clamp 1
		.amdhsa_ieee_mode 1
		.amdhsa_fp16_overflow 0
		.amdhsa_tg_split 0
		.amdhsa_exception_fp_ieee_invalid_op 0
		.amdhsa_exception_fp_denorm_src 0
		.amdhsa_exception_fp_ieee_div_zero 0
		.amdhsa_exception_fp_ieee_overflow 0
		.amdhsa_exception_fp_ieee_underflow 0
		.amdhsa_exception_fp_ieee_inexact 0
		.amdhsa_exception_int_div_zero 0
	.end_amdhsa_kernel
	.section	.text._ZN9rocsolver6v33100L22stebz_splitting_kernelIfPfEEv15rocblas_erange_iT_S4_iiT0_iiS5_iiPiPS4_lS6_lS6_S7_S7_S7_S7_S6_S4_S4_,"axG",@progbits,_ZN9rocsolver6v33100L22stebz_splitting_kernelIfPfEEv15rocblas_erange_iT_S4_iiT0_iiS5_iiPiPS4_lS6_lS6_S7_S7_S7_S7_S6_S4_S4_,comdat
.Lfunc_end2:
	.size	_ZN9rocsolver6v33100L22stebz_splitting_kernelIfPfEEv15rocblas_erange_iT_S4_iiT0_iiS5_iiPiPS4_lS6_lS6_S7_S7_S7_S7_S6_S4_S4_, .Lfunc_end2-_ZN9rocsolver6v33100L22stebz_splitting_kernelIfPfEEv15rocblas_erange_iT_S4_iiT0_iiS5_iiPiPS4_lS6_lS6_S7_S7_S7_S7_S6_S4_S4_
                                        ; -- End function
	.section	.AMDGPU.csdata,"",@progbits
; Kernel info:
; codeLenInByte = 6212
; NumSgprs: 62
; NumVgprs: 46
; NumAgprs: 0
; TotalNumVgprs: 46
; ScratchSize: 0
; MemoryBound: 0
; FloatMode: 240
; IeeeMode: 1
; LDSByteSize: 2048 bytes/workgroup (compile time only)
; SGPRBlocks: 7
; VGPRBlocks: 5
; NumSGPRsForWavesPerEU: 62
; NumVGPRsForWavesPerEU: 46
; AccumOffset: 48
; Occupancy: 8
; WaveLimiterHint : 1
; COMPUTE_PGM_RSRC2:SCRATCH_EN: 0
; COMPUTE_PGM_RSRC2:USER_SGPR: 6
; COMPUTE_PGM_RSRC2:TRAP_HANDLER: 0
; COMPUTE_PGM_RSRC2:TGID_X_EN: 1
; COMPUTE_PGM_RSRC2:TGID_Y_EN: 1
; COMPUTE_PGM_RSRC2:TGID_Z_EN: 0
; COMPUTE_PGM_RSRC2:TIDIG_COMP_CNT: 0
; COMPUTE_PGM_RSRC3_GFX90A:ACCUM_OFFSET: 11
; COMPUTE_PGM_RSRC3_GFX90A:TG_SPLIT: 0
	.section	.text._ZN9rocsolver6v33100L22stebz_bisection_kernelIfPfEEv15rocblas_erange_iT_T0_iiS5_iiPiPS4_lS6_lS6_lS6_S6_S7_S7_S7_S7_S6_S4_S4_,"axG",@progbits,_ZN9rocsolver6v33100L22stebz_bisection_kernelIfPfEEv15rocblas_erange_iT_T0_iiS5_iiPiPS4_lS6_lS6_lS6_S6_S7_S7_S7_S7_S6_S4_S4_,comdat
	.globl	_ZN9rocsolver6v33100L22stebz_bisection_kernelIfPfEEv15rocblas_erange_iT_T0_iiS5_iiPiPS4_lS6_lS6_lS6_S6_S7_S7_S7_S7_S6_S4_S4_ ; -- Begin function _ZN9rocsolver6v33100L22stebz_bisection_kernelIfPfEEv15rocblas_erange_iT_T0_iiS5_iiPiPS4_lS6_lS6_lS6_S6_S7_S7_S7_S7_S6_S4_S4_
	.p2align	8
	.type	_ZN9rocsolver6v33100L22stebz_bisection_kernelIfPfEEv15rocblas_erange_iT_T0_iiS5_iiPiPS4_lS6_lS6_lS6_S6_S7_S7_S7_S7_S6_S4_S4_,@function
_ZN9rocsolver6v33100L22stebz_bisection_kernelIfPfEEv15rocblas_erange_iT_T0_iiS5_iiPiPS4_lS6_lS6_lS6_S6_S7_S7_S7_S7_S6_S4_S4_: ; @_ZN9rocsolver6v33100L22stebz_bisection_kernelIfPfEEv15rocblas_erange_iT_T0_iiS5_iiPiPS4_lS6_lS6_lS6_S6_S7_S7_S7_S7_S6_S4_S4_
; %bb.0:
	s_load_dwordx16 s[8:23], s[4:5], 0x30
	s_mov_b32 s34, s7
	s_ashr_i32 s35, s7, 31
	s_lshl_b64 s[54:55], s[34:35], 2
	s_waitcnt lgkmcnt(0)
	s_add_u32 s0, s8, s54
	s_addc_u32 s1, s9, s55
	s_load_dword s33, s[0:1], 0x0
	s_waitcnt lgkmcnt(0)
	s_cmp_ge_i32 s6, s33
	s_cbranch_scc1 .LBB3_108
; %bb.1:
	s_load_dwordx8 s[24:31], s[4:5], 0x0
	s_load_dwordx4 s[44:47], s[4:5], 0x20
	s_load_dwordx8 s[36:43], s[4:5], 0x70
	s_load_dwordx4 s[0:3], s[4:5], 0x90
	s_waitcnt lgkmcnt(0)
	s_load_dword s27, s[4:5], 0xa0
	s_mul_hi_i32 s9, s31, s34
	s_mul_i32 s8, s31, s34
                                        ; kill: killed $sgpr4_sgpr5
	s_ashr_i32 s5, s30, 31
	s_lshl_b64 s[48:49], s[8:9], 2
	s_mov_b32 s4, s30
	s_add_u32 s7, s28, s48
	s_addc_u32 s8, s29, s49
	s_lshl_b64 s[50:51], s[4:5], 2
	s_add_u32 s62, s7, s50
	s_addc_u32 s63, s8, s51
	s_mul_hi_i32 s9, s47, s34
	s_mul_i32 s8, s47, s34
	s_ashr_i32 s5, s46, 31
	s_mov_b32 s4, s46
	s_lshl_b64 s[46:47], s[8:9], 2
	s_add_u32 s7, s44, s46
	s_addc_u32 s8, s45, s47
	s_lshl_b64 s[52:53], s[4:5], 2
	s_add_u32 s64, s7, s52
	s_mul_i32 s4, s34, s13
	s_mul_hi_u32 s5, s34, s12
	s_addc_u32 s65, s8, s53
	s_add_i32 s4, s5, s4
	s_mul_i32 s5, s35, s12
	s_add_i32 s5, s4, s5
	s_mul_i32 s4, s34, s12
	s_lshl_b64 s[4:5], s[4:5], 2
	s_add_u32 s66, s10, s4
	s_addc_u32 s67, s11, s5
	s_mul_i32 s4, s34, s17
	s_mul_hi_u32 s5, s34, s16
	s_add_i32 s4, s5, s4
	s_mul_i32 s5, s35, s16
	s_add_i32 s5, s4, s5
	s_mul_i32 s4, s34, s16
	s_lshl_b64 s[4:5], s[4:5], 2
	s_add_u32 s68, s14, s4
	s_addc_u32 s69, s15, s5
	s_mul_i32 s4, s34, s21
	s_mul_hi_u32 s5, s34, s20
	s_add_i32 s4, s5, s4
	s_mul_i32 s5, s35, s20
	s_add_i32 s5, s4, s5
	s_mul_i32 s4, s34, s20
	s_lshl_b64 s[4:5], s[4:5], 2
	s_add_u32 s70, s18, s4
	s_addc_u32 s71, s19, s5
	s_add_i32 s4, s25, -1
	s_mul_i32 s4, s4, s34
	s_ashr_i32 s5, s4, 31
	s_lshl_b64 s[4:5], s[4:5], 2
	s_add_u32 s72, s40, s4
	s_addc_u32 s73, s41, s5
	s_lshl_b32 s4, s34, 1
	s_ashr_i32 s5, s4, 31
	s_lshl_b64 s[4:5], s[4:5], 2
	s_add_u32 s20, s42, s4
	s_addc_u32 s21, s43, s5
	s_add_u32 s4, s38, s54
	s_addc_u32 s5, s39, s55
	s_load_dword s30, s[4:5], 0x0
	s_add_u32 s22, s22, s54
	s_mul_i32 s4, s34, s25
	s_addc_u32 s23, s23, s55
	s_lshl_b32 s8, s4, 2
	s_ashr_i32 s9, s8, 31
	s_lshl_b64 s[8:9], s[8:9], 2
	s_add_u32 s74, s0, s8
	s_addc_u32 s75, s1, s9
	s_add_u32 s76, s2, s8
	s_addc_u32 s77, s3, s9
	s_ashr_i32 s5, s4, 31
	s_lshl_b64 s[0:1], s[4:5], 2
	s_add_u32 s78, s36, s0
	s_addc_u32 s79, s37, s1
	s_cmpk_lg_i32 s24, 0xe7
	v_mov_b32_e32 v2, 0x800000
	s_cselect_b64 s[34:35], -1, 0
	s_add_u32 s82, s70, -4
	v_mov_b32_e32 v1, 0x4f800000
	s_waitcnt lgkmcnt(0)
	v_cmp_lt_f32_e32 vcc, s30, v2
	s_addc_u32 s83, s71, -1
	v_cndmask_b32_e32 v2, 1.0, v1, vcc
	s_add_u32 s7, s48, s50
	v_mul_f32_e32 v2, s30, v2
	s_addc_u32 s12, s49, s51
	v_log_f32_e32 v2, v2
	s_add_u32 s7, s7, s28
	s_addc_u32 s12, s12, s29
	s_add_u32 s84, s7, 4
	s_addc_u32 s85, s12, 0
	s_mov_b32 s80, 0x3f317217
	v_mul_f32_e32 v3, 0x3f317217, v2
	s_add_u32 s7, s46, s52
	v_fma_f32 v4, v2, s80, -v3
	s_addc_u32 s12, s47, s53
	v_fmac_f32_e32 v4, 0x3377d1cf, v2
	s_mov_b32 s81, 0x7f800000
	s_add_u32 s7, s7, s44
	v_add_f32_e32 v3, v3, v4
	v_cmp_lt_f32_e64 s[8:9], |v2|, s81
	v_mov_b32_e32 v12, 0x41b17218
	s_addc_u32 s12, s12, s45
	v_cndmask_b32_e64 v2, v2, v3, s[8:9]
	v_cndmask_b32_e32 v3, 0, v12, vcc
	v_mov_b32_e32 v14, 0x1000
	v_lshlrev_b32_e32 v16, 4, v0
	v_and_b32_e32 v19, 0x7c, v0
	s_add_u32 s86, s7, 4
	s_mov_b32 s28, 0xfefa39ef
	v_cmp_lt_f32_e64 s[0:1], s26, 0
	v_cmp_eq_u32_e64 s[2:3], 0, v0
	v_cmp_ne_u32_e64 s[4:5], 0, v0
	s_mov_b32 s24, 0x800000
	v_sub_f32_e32 v13, v2, v3
	v_lshl_or_b32 v15, v0, 2, v14
	v_or_b32_e32 v17, 0x800, v16
	v_add_f32_e64 v18, s27, s27
	s_mov_b32 s31, s30
	v_cmp_lt_u32_e64 s[8:9], 3, v0
	v_cmp_ne_u32_e64 s[10:11], v0, v19
	s_addc_u32 s87, s12, 0
	v_mov_b32_e32 v20, 0
	s_mov_b32 s29, 0x3fe62e42
	v_mov_b32_e32 v21, 1
                                        ; implicit-def: $vgpr22
                                        ; implicit-def: $vgpr23
                                        ; implicit-def: $vgpr24
                                        ; implicit-def: $vgpr25
                                        ; implicit-def: $vgpr26
	s_branch .LBB3_4
.LBB3_2:                                ;   in Loop: Header=BB3_4 Depth=1
	s_or_b64 exec, exec, s[12:13]
	v_mov_b32_e32 v5, v26
	v_mov_b32_e32 v29, v25
	;; [unrolled: 1-line block ×5, first 2 shown]
.LBB3_3:                                ;   in Loop: Header=BB3_4 Depth=1
	s_add_i32 s6, s6, 64
	s_cmp_lt_i32 s6, s33
	v_mov_b32_e32 v22, v28
	v_mov_b32_e32 v23, v30
	;; [unrolled: 1-line block ×5, first 2 shown]
	s_barrier
	s_cbranch_scc0 .LBB3_108
.LBB3_4:                                ; =>This Loop Header: Depth=1
                                        ;     Child Loop BB3_9 Depth 2
                                        ;     Child Loop BB3_22 Depth 2
	;; [unrolled: 1-line block ×4, first 2 shown]
                                        ;       Child Loop BB3_42 Depth 3
                                        ;         Child Loop BB3_45 Depth 4
                                        ;         Child Loop BB3_59 Depth 4
	;; [unrolled: 1-line block ×3, first 2 shown]
                                        ;     Child Loop BB3_85 Depth 2
                                        ;       Child Loop BB3_88 Depth 3
                                        ;       Child Loop BB3_92 Depth 3
	s_ashr_i32 s7, s6, 31
	s_cmp_eq_u32 s6, 0
	s_mov_b32 s38, 0
	s_cbranch_scc1 .LBB3_6
; %bb.5:                                ;   in Loop: Header=BB3_4 Depth=1
	s_lshl_b64 s[12:13], s[6:7], 2
	s_add_u32 s12, s82, s12
	s_addc_u32 s13, s83, s13
	global_load_dword v2, v20, s[12:13]
	s_waitcnt vmcnt(0)
	v_readfirstlane_b32 s38, v2
.LBB3_6:                                ;   in Loop: Header=BB3_4 Depth=1
	s_lshl_b64 s[36:37], s[6:7], 2
	s_add_u32 s12, s70, s36
	s_addc_u32 s13, s71, s37
	global_load_dword v2, v20, s[12:13]
	s_waitcnt vmcnt(0)
	v_readfirstlane_b32 s7, v2
	s_sub_i32 s50, s7, s38
	s_cmp_lg_u32 s50, 1
	s_cbranch_scc0 .LBB3_16
; %bb.7:                                ;   in Loop: Header=BB3_4 Depth=1
	s_ashr_i32 s39, s38, 31
	s_lshl_b64 s[14:15], s[38:39], 2
	s_add_u32 s16, s62, s14
	s_addc_u32 s17, s63, s15
	s_add_u32 s12, s64, s14
	s_addc_u32 s13, s65, s15
	global_load_dword v2, v20, s[12:13]
	global_load_dword v7, v20, s[16:17]
	s_cmp_lt_i32 s50, 3
	s_waitcnt vmcnt(1)
	v_and_b32_e32 v4, 0x7fffffff, v2
	s_waitcnt vmcnt(0)
	v_sub_f32_e64 v3, v7, |v2|
	v_add_f32_e64 v2, v7, |v2|
	s_cbranch_scc1 .LBB3_10
; %bb.8:                                ;   in Loop: Header=BB3_4 Depth=1
	s_add_i32 s7, s50, -2
	s_add_u32 s12, s84, s14
	s_addc_u32 s13, s85, s15
	s_add_u32 s18, s86, s14
	s_addc_u32 s19, s87, s15
.LBB3_9:                                ;   Parent Loop BB3_4 Depth=1
                                        ; =>  This Inner Loop Header: Depth=2
	global_load_dword v5, v20, s[12:13]
	global_load_dword v6, v20, s[18:19]
	v_mov_b32_e32 v8, v4
	s_add_i32 s7, s7, -1
	s_add_u32 s12, s12, 4
	s_addc_u32 s13, s13, 0
	s_add_u32 s18, s18, 4
	s_addc_u32 s19, s19, 0
	s_cmp_lg_u32 s7, 0
	s_waitcnt vmcnt(1)
	v_sub_f32_e32 v9, v5, v8
	v_add_f32_e32 v5, v8, v5
	s_waitcnt vmcnt(0)
	v_sub_f32_e64 v8, v9, |v6|
	v_add_f32_e64 v5, v5, |v6|
	v_cmp_lt_f32_e32 vcc, v8, v3
	v_cndmask_b32_e32 v3, v3, v8, vcc
	v_cmp_lt_f32_e32 vcc, v2, v5
	v_and_b32_e32 v4, 0x7fffffff, v6
	v_cndmask_b32_e32 v2, v2, v5, vcc
	s_cbranch_scc1 .LBB3_9
.LBB3_10:                               ;   in Loop: Header=BB3_4 Depth=1
	s_add_i32 s18, s50, -1
	s_ashr_i32 s19, s18, 31
	s_lshl_b64 s[12:13], s[18:19], 2
	s_add_u32 s12, s16, s12
	s_addc_u32 s13, s17, s13
	global_load_dword v5, v20, s[12:13]
	v_cvt_f32_i32_e32 v8, s50
	s_waitcnt vmcnt(0)
	v_sub_f32_e32 v6, v5, v4
	v_add_f32_e32 v4, v4, v5
	v_cmp_lt_f32_e32 vcc, v6, v3
	v_cndmask_b32_e32 v3, v3, v6, vcc
	v_cmp_lt_f32_e32 vcc, v2, v4
	v_cndmask_b32_e32 v5, v2, v4, vcc
	v_cmp_lt_f32_e64 vcc, |v3|, |v5|
	v_cndmask_b32_e32 v2, v3, v5, vcc
	v_mul_f32_e64 v6, |v2|, s27
	v_fma_f32 v4, -v6, v8, v3
	v_fmac_f32_e32 v5, v6, v8
	v_pk_add_f32 v[2:3], v[4:5], s[30:31] neg_lo:[0,1] neg_hi:[0,1]
	v_pk_add_f32 v[4:5], v[4:5], s[30:31]
	s_andn2_b64 vcc, exec, s[34:35]
	v_mov_b32_e32 v3, v5
	s_cbranch_vccnz .LBB3_12
; %bb.11:                               ;   in Loop: Header=BB3_4 Depth=1
	global_load_dwordx2 v[8:9], v20, s[20:21]
	v_mov_b32_e32 v3, v5
	s_waitcnt vmcnt(0)
	v_cmp_lt_f32_e32 vcc, v2, v8
	v_cndmask_b32_e32 v2, v2, v8, vcc
	v_cmp_lt_f32_e32 vcc, v9, v3
	v_cndmask_b32_e32 v3, v3, v9, vcc
.LBB3_12:                               ;   in Loop: Header=BB3_4 Depth=1
	v_cmp_nlt_f32_e32 vcc, v2, v3
	s_cbranch_vccz .LBB3_17
; %bb.13:                               ;   in Loop: Header=BB3_4 Depth=1
	s_and_saveexec_b64 s[12:13], s[2:3]
	s_cbranch_execz .LBB3_15
; %bb.14:                               ;   in Loop: Header=BB3_4 Depth=1
	s_add_u32 s40, s78, s36
	s_addc_u32 s41, s79, s37
	ds_write_b16 v20, v20 offset:4612
	global_store_dword v20, v20, s[40:41]
.LBB3_15:                               ;   in Loop: Header=BB3_4 Depth=1
	s_or_b64 exec, exec, s[12:13]
	s_mov_b64 s[12:13], 0
	s_branch .LBB3_18
.LBB3_16:                               ;   in Loop: Header=BB3_4 Depth=1
                                        ; implicit-def: $vgpr28
                                        ; implicit-def: $vgpr30
                                        ; implicit-def: $vgpr27
                                        ; implicit-def: $vgpr29
                                        ; implicit-def: $vgpr5
	s_cbranch_execz .LBB3_3
	s_branch .LBB3_99
.LBB3_17:                               ;   in Loop: Header=BB3_4 Depth=1
	s_mov_b64 s[12:13], -1
.LBB3_18:                               ;   in Loop: Header=BB3_4 Depth=1
	s_andn2_b64 vcc, exec, s[12:13]
	v_mov_b32_e32 v5, v26
	v_mov_b32_e32 v29, v25
	;; [unrolled: 1-line block ×4, first 2 shown]
	s_cbranch_vccnz .LBB3_32
; %bb.19:                               ;   in Loop: Header=BB3_4 Depth=1
	v_sub_f32_e32 v4, v3, v2
	v_add_f32_e32 v4, s30, v4
	v_cmp_gt_f32_e32 vcc, s24, v4
	v_cndmask_b32_e32 v5, 1.0, v1, vcc
	v_mul_f32_e32 v4, v4, v5
	v_log_f32_e32 v4, v4
	v_cndmask_b32_e32 v5, 0, v12, vcc
	v_mul_f32_e32 v8, 0x3f317217, v4
	v_fma_f32 v9, v4, s80, -v8
	v_fmac_f32_e32 v9, 0x3377d1cf, v4
	v_add_f32_e32 v8, v8, v9
	v_cmp_lt_f32_e64 vcc, |v4|, s81
	v_cndmask_b32_e32 v4, v4, v8, vcc
	v_sub_f32_e32 v4, v4, v5
	v_sub_f32_e32 v4, v4, v13
	v_cvt_f64_f32_e32 v[4:5], v4
	v_div_scale_f64 v[8:9], s[12:13], s[28:29], s[28:29], v[4:5]
	v_rcp_f64_e32 v[10:11], v[8:9]
	v_div_scale_f64 v[28:29], vcc, v[4:5], s[28:29], v[4:5]
	v_fma_f64 v[30:31], -v[8:9], v[10:11], 1.0
	v_fmac_f64_e32 v[10:11], v[10:11], v[30:31]
	v_fma_f64 v[30:31], -v[8:9], v[10:11], 1.0
	v_fmac_f64_e32 v[10:11], v[10:11], v[30:31]
	v_mul_f64 v[30:31], v[28:29], v[10:11]
	v_fma_f64 v[8:9], -v[8:9], v[30:31], v[28:29]
	v_div_fmas_f64 v[8:9], v[8:9], v[10:11], v[30:31]
	v_div_fixup_f64 v[4:5], v[8:9], s[28:29], v[4:5]
	v_cvt_i32_f64_e32 v4, v[4:5]
	v_add_u32_e32 v27, 2, v4
	v_mov_b32_e32 v28, 0
	v_mov_b32_e32 v29, 1
	;; [unrolled: 1-line block ×3, first 2 shown]
	s_and_saveexec_b64 s[40:41], s[2:3]
	s_cbranch_execz .LBB3_31
; %bb.20:                               ;   in Loop: Header=BB3_4 Depth=1
	s_add_u32 s42, s72, s14
	v_sub_f32_e32 v5, v7, v2
	s_addc_u32 s43, s73, s15
	s_cmp_gt_i32 s50, 1
	v_cmp_ge_f32_e32 vcc, s30, v5
	s_cselect_b64 s[44:45], -1, 0
	s_cmp_lt_i32 s50, 2
	v_cndmask_b32_e64 v4, 0, 1, vcc
	ds_write_b8 v20, v20 offset:4613
	s_cbranch_scc1 .LBB3_23
; %bb.21:                               ;   in Loop: Header=BB3_4 Depth=1
	v_cmp_gt_f32_e64 s[12:13], v5, -s30
	s_and_b64 s[12:13], vcc, s[12:13]
	v_mov_b32_e32 v8, s30
	s_add_u32 s46, s84, s14
	v_cndmask_b32_e64 v5, v5, -v8, s[12:13]
	s_addc_u32 s47, s85, s15
	s_mov_b64 s[48:49], s[42:43]
	s_mov_b32 s7, s18
.LBB3_22:                               ;   Parent Loop BB3_4 Depth=1
                                        ; =>  This Inner Loop Header: Depth=2
	global_load_dword v8, v20, s[46:47]
	global_load_dword v9, v20, s[48:49]
	s_add_i32 s7, s7, -1
	v_mov_b32_e32 v10, s30
	s_waitcnt vmcnt(1)
	v_sub_f32_e32 v8, v8, v2
	s_waitcnt vmcnt(0)
	v_div_scale_f32 v11, s[12:13], v5, v5, v9
	v_rcp_f32_e32 v29, v11
	v_div_scale_f32 v28, vcc, v9, v5, v9
	v_fma_f32 v30, -v11, v29, 1.0
	v_fmac_f32_e32 v29, v30, v29
	v_mul_f32_e32 v30, v28, v29
	v_fma_f32 v31, -v11, v30, v28
	v_fmac_f32_e32 v30, v31, v29
	v_fma_f32 v11, -v11, v30, v28
	v_div_fmas_f32 v11, v11, v29, v30
	v_div_fixup_f32 v5, v11, v5, v9
	v_sub_f32_e32 v5, v8, v5
	v_cmp_ge_f32_e32 vcc, s30, v5
	v_cmp_gt_f32_e64 s[52:53], v5, -s30
	v_addc_co_u32_e64 v4, s[12:13], 0, v4, vcc
	s_and_b64 s[12:13], vcc, s[52:53]
	s_add_u32 s48, s48, 4
	s_addc_u32 s49, s49, 0
	s_add_u32 s46, s46, 4
	s_addc_u32 s47, s47, 0
	s_cmp_lg_u32 s7, 0
	v_cndmask_b32_e64 v5, v5, -v10, s[12:13]
	s_cbranch_scc1 .LBB3_22
.LBB3_23:                               ;   in Loop: Header=BB3_4 Depth=1
	v_sub_f32_e32 v7, v7, v3
	v_cmp_ge_f32_e64 s[12:13], s30, v7
	s_andn2_b64 vcc, exec, s[44:45]
	v_cndmask_b32_e64 v5, 0, 1, s[12:13]
	s_cbranch_vccnz .LBB3_26
; %bb.24:                               ;   in Loop: Header=BB3_4 Depth=1
	v_cmp_gt_f32_e64 s[44:45], v7, -s30
	s_and_b64 s[12:13], s[12:13], s[44:45]
	v_mov_b32_e32 v8, s30
	s_add_u32 s44, s84, s14
	v_cndmask_b32_e64 v7, v7, -v8, s[12:13]
	s_addc_u32 s45, s85, s15
	s_mov_b32 s7, s18
.LBB3_25:                               ;   Parent Loop BB3_4 Depth=1
                                        ; =>  This Inner Loop Header: Depth=2
	global_load_dword v8, v20, s[44:45]
	global_load_dword v9, v20, s[42:43]
	s_add_i32 s7, s7, -1
	v_mov_b32_e32 v10, s30
	s_waitcnt vmcnt(1)
	v_sub_f32_e32 v8, v8, v3
	s_waitcnt vmcnt(0)
	v_div_scale_f32 v11, s[12:13], v7, v7, v9
	v_rcp_f32_e32 v29, v11
	v_div_scale_f32 v28, vcc, v9, v7, v9
	v_fma_f32 v30, -v11, v29, 1.0
	v_fmac_f32_e32 v29, v30, v29
	v_mul_f32_e32 v30, v28, v29
	v_fma_f32 v31, -v11, v30, v28
	v_fmac_f32_e32 v30, v31, v29
	v_fma_f32 v11, -v11, v30, v28
	v_div_fmas_f32 v11, v11, v29, v30
	v_div_fixup_f32 v7, v11, v7, v9
	v_sub_f32_e32 v7, v8, v7
	v_cmp_ge_f32_e32 vcc, s30, v7
	v_cmp_gt_f32_e64 s[46:47], v7, -s30
	v_addc_co_u32_e64 v5, s[12:13], 0, v5, vcc
	s_and_b64 s[12:13], vcc, s[46:47]
	s_add_u32 s42, s42, 4
	s_addc_u32 s43, s43, 0
	s_add_u32 s44, s44, 4
	s_addc_u32 s45, s45, 0
	s_cmp_lg_u32 s7, 0
	v_cndmask_b32_e64 v7, v7, -v10, s[12:13]
	s_cbranch_scc1 .LBB3_25
.LBB3_26:                               ;   in Loop: Header=BB3_4 Depth=1
	v_sub_u32_e32 v7, v5, v4
	v_cmp_gt_i32_e32 vcc, 1, v7
	s_cbranch_vccz .LBB3_28
; %bb.27:                               ;   in Loop: Header=BB3_4 Depth=1
	s_add_u32 s12, s78, s36
	s_addc_u32 s13, s79, s37
	ds_write_b8 v20, v20 offset:4612
	global_store_dword v20, v20, s[12:13]
	s_mov_b32 s7, 1
	s_mov_b32 s19, 0
	s_cbranch_execz .LBB3_29
	s_branch .LBB3_30
.LBB3_28:                               ;   in Loop: Header=BB3_4 Depth=1
                                        ; implicit-def: $sgpr19
                                        ; implicit-def: $sgpr7
.LBB3_29:                               ;   in Loop: Header=BB3_4 Depth=1
	s_add_i32 s12, s38, s25
	s_lshl_b32 s12, s12, 1
	s_ashr_i32 s13, s12, 31
	s_lshl_b64 s[12:13], s[12:13], 2
	s_add_u32 s42, s74, s12
	s_addc_u32 s43, s75, s13
	global_store_dwordx2 v20, v[2:3], s[42:43]
	s_add_u32 s42, s78, s36
	s_addc_u32 s43, s79, s37
	s_add_u32 s12, s76, s12
	s_mov_b32 s7, 1
	s_addc_u32 s13, s77, s13
	s_mov_b32 s19, 0
	ds_write_b8 v20, v21 offset:4612
	global_store_dword v20, v7, s[42:43]
	global_store_dwordx2 v20, v[4:5], s[12:13]
.LBB3_30:                               ;   in Loop: Header=BB3_4 Depth=1
	v_mov_b32_e32 v28, s19
	v_mov_b32_e32 v29, s7
.LBB3_31:                               ;   in Loop: Header=BB3_4 Depth=1
	s_or_b64 exec, exec, s[40:41]
.LBB3_32:                               ;   in Loop: Header=BB3_4 Depth=1
	s_waitcnt lgkmcnt(0)
	s_barrier
	ds_read_u8 v2, v20 offset:4612
	s_mov_b64 s[12:13], 0
	s_waitcnt lgkmcnt(0)
	v_cmp_eq_u32_e32 vcc, 0, v2
	s_cbranch_vccnz .LBB3_77
; %bb.33:                               ;   in Loop: Header=BB3_4 Depth=1
	ds_read_u8 v2, v20 offset:4613
	v_cmp_lt_i32_e32 vcc, v28, v27
	s_mov_b64 s[12:13], -1
	v_mov_b32_e32 v30, v23
	s_waitcnt lgkmcnt(0)
	v_readfirstlane_b32 s7, v2
	s_bitcmp1_b32 s7, 0
	s_cselect_b64 s[40:41], -1, 0
	s_xor_b64 s[40:41], s[40:41], -1
	s_and_b64 s[42:43], s[40:41], vcc
	s_and_saveexec_b64 s[40:41], s[42:43]
	s_cbranch_execz .LBB3_79
; %bb.34:                               ;   in Loop: Header=BB3_4 Depth=1
	s_add_i32 s7, s38, s25
	s_lshl_b32 s7, s7, 1
	s_cmp_gt_i32 s50, 1
	s_cselect_b64 s[42:43], -1, 0
	s_lshl_b32 s19, s38, 1
	v_mov_b32_e32 v2, s26
	s_add_u32 s44, s72, s14
	v_cndmask_b32_e64 v2, v2, v6, s[0:1]
	s_addc_u32 s45, s73, s15
	v_mov_b32_e32 v3, s30
	v_cmp_gt_f32_e32 vcc, s30, v2
	s_add_u32 s46, s84, s14
	v_cndmask_b32_e32 v31, v2, v3, vcc
	s_addc_u32 s47, s85, s15
	s_mov_b64 s[48:49], 0
                                        ; implicit-def: $sgpr50_sgpr51
	s_branch .LBB3_37
.LBB3_35:                               ;   in Loop: Header=BB3_37 Depth=2
	s_mov_b64 s[14:15], -1
	s_mov_b64 s[12:13], 0
.LBB3_36:                               ;   in Loop: Header=BB3_37 Depth=2
	s_and_b64 s[14:15], exec, s[14:15]
	s_or_b64 s[48:49], s[14:15], s[48:49]
	s_andn2_b64 s[14:15], s[50:51], exec
	s_and_b64 s[12:13], s[12:13], exec
	s_or_b64 s[50:51], s[14:15], s[12:13]
	s_andn2_b64 exec, exec, s[48:49]
	s_cbranch_execz .LBB3_78
.LBB3_37:                               ;   Parent Loop BB3_4 Depth=1
                                        ; =>  This Loop Header: Depth=2
                                        ;       Child Loop BB3_42 Depth 3
                                        ;         Child Loop BB3_45 Depth 4
                                        ;         Child Loop BB3_59 Depth 4
	;; [unrolled: 1-line block ×3, first 2 shown]
	s_and_saveexec_b64 s[12:13], s[2:3]
	s_cbranch_execz .LBB3_39
; %bb.38:                               ;   in Loop: Header=BB3_37 Depth=2
	ds_write_b32 v20, v20 offset:4608
.LBB3_39:                               ;   in Loop: Header=BB3_37 Depth=2
	s_or_b64 exec, exec, s[12:13]
	v_and_b32_e32 v2, 1, v28
	v_mov_b32_e32 v3, s7
	v_mov_b32_e32 v4, s19
	v_cmp_eq_u32_e32 vcc, 0, v2
	v_cndmask_b32_e32 v30, v3, v4, vcc
	v_cmp_lt_i32_e64 s[12:13], 0, v29
	s_and_saveexec_b64 s[52:53], s[12:13]
	s_cbranch_execz .LBB3_72
; %bb.40:                               ;   in Loop: Header=BB3_37 Depth=2
	v_mov_b32_e32 v2, s19
	v_mov_b32_e32 v3, s7
	v_cndmask_b32_e32 v32, v2, v3, vcc
	s_mov_b32 s88, 0
	s_mov_b64 s[54:55], 0
	s_branch .LBB3_42
.LBB3_41:                               ;   in Loop: Header=BB3_42 Depth=3
	s_or_b64 exec, exec, s[12:13]
	s_addk_i32 s88, 0x80
	v_cmp_ge_i32_e32 vcc, s88, v29
	s_or_b64 s[54:55], vcc, s[54:55]
	s_waitcnt lgkmcnt(0)
	s_barrier
	s_andn2_b64 exec, exec, s[54:55]
	s_cbranch_execz .LBB3_71
.LBB3_42:                               ;   Parent Loop BB3_4 Depth=1
                                        ;     Parent Loop BB3_37 Depth=2
                                        ; =>    This Loop Header: Depth=3
                                        ;         Child Loop BB3_45 Depth 4
                                        ;         Child Loop BB3_59 Depth 4
	;; [unrolled: 1-line block ×3, first 2 shown]
	v_add_u32_e32 v2, s88, v0
	v_cmp_lt_i32_e64 s[12:13], v2, v29
	s_and_saveexec_b64 s[56:57], s[12:13]
	s_cbranch_execz .LBB3_55
; %bb.43:                               ;   in Loop: Header=BB3_42 Depth=3
	v_lshl_add_u32 v2, v2, 1, v32
	v_ashrrev_i32_e32 v3, 31, v2
	v_lshlrev_b64 v[4:5], 2, v[2:3]
	v_mov_b32_e32 v3, s75
	v_add_co_u32_e32 v2, vcc, s74, v4
	v_addc_co_u32_e32 v3, vcc, v3, v5, vcc
	global_load_dwordx2 v[10:11], v[2:3], off
	v_mov_b32_e32 v2, s77
	global_load_dword v3, v20, s[16:17]
	v_add_co_u32_e32 v4, vcc, s76, v4
	v_addc_co_u32_e32 v5, vcc, v2, v5, vcc
	global_load_dwordx2 v[4:5], v[4:5], off
	s_andn2_b64 vcc, exec, s[42:43]
	s_waitcnt vmcnt(2)
	v_add_f32_e32 v2, v10, v11
	v_mul_f32_e32 v8, 0.5, v2
	s_waitcnt vmcnt(1)
	v_fmac_f32_e32 v3, -0.5, v2
	v_cmp_ge_f32_e64 s[14:15], s30, v3
	v_cndmask_b32_e64 v2, 0, 1, s[14:15]
	s_cbranch_vccnz .LBB3_46
; %bb.44:                               ;   in Loop: Header=BB3_42 Depth=3
	v_cmp_gt_f32_e64 s[58:59], v3, -s30
	v_mov_b32_e32 v6, s30
	s_and_b64 s[14:15], s[14:15], s[58:59]
	v_cndmask_b32_e64 v3, v3, -v6, s[14:15]
	s_mov_b64 s[58:59], s[46:47]
	s_mov_b64 s[60:61], s[44:45]
	s_mov_b32 s89, s18
.LBB3_45:                               ;   Parent Loop BB3_4 Depth=1
                                        ;     Parent Loop BB3_37 Depth=2
                                        ;       Parent Loop BB3_42 Depth=3
                                        ; =>      This Inner Loop Header: Depth=4
	global_load_dword v6, v20, s[58:59]
	global_load_dword v7, v20, s[60:61]
	s_add_i32 s89, s89, -1
	v_mov_b32_e32 v9, s30
	s_waitcnt vmcnt(1)
	v_sub_f32_e32 v6, v6, v8
	s_waitcnt vmcnt(0)
	v_div_scale_f32 v33, s[14:15], v3, v3, v7
	v_rcp_f32_e32 v35, v33
	v_div_scale_f32 v34, vcc, v7, v3, v7
	v_fma_f32 v36, -v33, v35, 1.0
	v_fmac_f32_e32 v35, v36, v35
	v_mul_f32_e32 v36, v34, v35
	v_fma_f32 v37, -v33, v36, v34
	v_fmac_f32_e32 v36, v37, v35
	v_fma_f32 v33, -v33, v36, v34
	v_div_fmas_f32 v33, v33, v35, v36
	v_div_fixup_f32 v3, v33, v3, v7
	v_sub_f32_e32 v3, v6, v3
	v_cmp_ge_f32_e32 vcc, s30, v3
	v_cmp_gt_f32_e64 s[90:91], v3, -s30
	v_addc_co_u32_e64 v2, s[14:15], 0, v2, vcc
	s_and_b64 s[14:15], vcc, s[90:91]
	s_add_u32 s60, s60, 4
	s_addc_u32 s61, s61, 0
	s_add_u32 s58, s58, 4
	s_addc_u32 s59, s59, 0
	s_cmp_lg_u32 s89, 0
	v_cndmask_b32_e64 v3, v3, -v9, s[14:15]
	s_cbranch_scc1 .LBB3_45
.LBB3_46:                               ;   in Loop: Header=BB3_42 Depth=3
	s_waitcnt vmcnt(0)
	v_max_i32_e32 v2, v2, v4
	v_min_i32_e32 v3, v2, v5
	v_cmp_ne_u32_e32 vcc, v3, v4
	s_and_saveexec_b64 s[14:15], vcc
	s_xor_b64 s[14:15], exec, s[14:15]
	s_cbranch_execz .LBB3_52
; %bb.47:                               ;   in Loop: Header=BB3_42 Depth=3
	v_cmp_le_i32_e32 vcc, v5, v2
	s_and_saveexec_b64 s[58:59], vcc
	s_xor_b64 s[58:59], exec, s[58:59]
	s_cbranch_execz .LBB3_49
; %bb.48:                               ;   in Loop: Header=BB3_42 Depth=3
	v_mov_b32_e32 v11, v8
	v_mov_b32_e32 v2, v4
	ds_write_b32 v15, v20
	ds_write_b64 v16, v[10:11]
	ds_write_b64 v17, v[2:3]
                                        ; implicit-def: $vgpr10
                                        ; implicit-def: $vgpr8
.LBB3_49:                               ;   in Loop: Header=BB3_42 Depth=3
	s_andn2_saveexec_b64 s[58:59], s[58:59]
	s_cbranch_execz .LBB3_51
; %bb.50:                               ;   in Loop: Header=BB3_42 Depth=3
	v_mov_b32_e32 v6, v10
	v_mov_b32_e32 v7, v8
	;; [unrolled: 1-line block ×5, first 2 shown]
	ds_write_b32 v15, v21
	ds_write_b128 v16, v[6:9]
	ds_write_b128 v17, v[2:5]
.LBB3_51:                               ;   in Loop: Header=BB3_42 Depth=3
	s_or_b64 exec, exec, s[58:59]
                                        ; implicit-def: $vgpr8
                                        ; implicit-def: $vgpr10_vgpr11
.LBB3_52:                               ;   in Loop: Header=BB3_42 Depth=3
	s_andn2_saveexec_b64 s[14:15], s[14:15]
	s_cbranch_execz .LBB3_54
; %bb.53:                               ;   in Loop: Header=BB3_42 Depth=3
	v_mov_b32_e32 v9, v11
	ds_write_b32 v15, v20
	ds_write_b64 v16, v[8:9]
	ds_write_b64 v17, v[4:5]
.LBB3_54:                               ;   in Loop: Header=BB3_42 Depth=3
	s_or_b64 exec, exec, s[14:15]
.LBB3_55:                               ;   in Loop: Header=BB3_42 Depth=3
	s_or_b64 exec, exec, s[56:57]
	s_waitcnt lgkmcnt(0)
	s_barrier
	s_and_saveexec_b64 s[14:15], s[12:13]
	s_cbranch_execz .LBB3_69
; %bb.56:                               ;   in Loop: Header=BB3_42 Depth=3
	v_mov_b32_e32 v5, 0
	s_and_saveexec_b64 s[12:13], s[4:5]
	s_cbranch_execz .LBB3_66
; %bb.57:                               ;   in Loop: Header=BB3_42 Depth=3
	s_mov_b64 s[58:59], -1
	v_mov_b32_e32 v5, 0
	v_mov_b32_e32 v3, 0
	s_and_saveexec_b64 s[56:57], s[8:9]
	s_cbranch_execz .LBB3_61
; %bb.58:                               ;   in Loop: Header=BB3_42 Depth=3
	s_movk_i32 s60, 0x1000
	s_mov_b64 s[58:59], 0
	v_mov_b32_e32 v2, 0
	v_mov_b32_e32 v3, v19
	;; [unrolled: 1-line block ×5, first 2 shown]
.LBB3_59:                               ;   Parent Loop BB3_4 Depth=1
                                        ;     Parent Loop BB3_37 Depth=2
                                        ;       Parent Loop BB3_42 Depth=3
                                        ; =>      This Inner Loop Header: Depth=4
	v_mov_b32_e32 v7, s60
	ds_read_b128 v[8:11], v7
	v_add_u32_e32 v3, -4, v3
	s_add_i32 s60, s60, 16
	v_cmp_eq_u32_e32 vcc, 0, v3
	s_or_b64 s[58:59], vcc, s[58:59]
	s_waitcnt lgkmcnt(0)
	v_add_u32_e32 v4, v9, v4
	v_add_u32_e32 v2, v8, v2
	;; [unrolled: 1-line block ×4, first 2 shown]
	s_andn2_b64 exec, exec, s[58:59]
	s_cbranch_execnz .LBB3_59
; %bb.60:                               ;   in Loop: Header=BB3_42 Depth=3
	s_or_b64 exec, exec, s[58:59]
	v_add_u32_e32 v3, v6, v4
	v_add3_u32 v5, v5, v2, v3
	s_orn2_b64 s[58:59], s[10:11], exec
	v_mov_b32_e32 v3, v19
.LBB3_61:                               ;   in Loop: Header=BB3_42 Depth=3
	s_or_b64 exec, exec, s[56:57]
	s_and_saveexec_b64 s[56:57], s[58:59]
	s_cbranch_execz .LBB3_65
; %bb.62:                               ;   in Loop: Header=BB3_42 Depth=3
	v_sub_u32_e32 v2, v0, v3
	v_lshl_or_b32 v3, v3, 2, v14
	s_mov_b64 s[58:59], 0
.LBB3_63:                               ;   Parent Loop BB3_4 Depth=1
                                        ;     Parent Loop BB3_37 Depth=2
                                        ;       Parent Loop BB3_42 Depth=3
                                        ; =>      This Inner Loop Header: Depth=4
	ds_read_b32 v4, v3
	v_add_u32_e32 v2, -1, v2
	v_cmp_eq_u32_e32 vcc, 0, v2
	v_add_u32_e32 v3, 4, v3
	s_or_b64 s[58:59], vcc, s[58:59]
	s_waitcnt lgkmcnt(0)
	v_add_u32_e32 v5, v4, v5
	s_andn2_b64 exec, exec, s[58:59]
	s_cbranch_execnz .LBB3_63
; %bb.64:                               ;   in Loop: Header=BB3_42 Depth=3
	s_or_b64 exec, exec, s[58:59]
.LBB3_65:                               ;   in Loop: Header=BB3_42 Depth=3
	s_or_b64 exec, exec, s[56:57]
.LBB3_66:                               ;   in Loop: Header=BB3_42 Depth=3
	s_or_b64 exec, exec, s[12:13]
	ds_read_b32 v2, v20 offset:4608
	ds_read_b64 v[8:9], v17
	ds_read_b64 v[10:11], v16
	ds_read_b32 v33, v15
	v_mov_b32_e32 v4, s75
	s_waitcnt lgkmcnt(3)
	v_add3_u32 v2, v5, v0, v2
	v_lshl_add_u32 v2, v2, 1, v30
	v_ashrrev_i32_e32 v3, 31, v2
	v_lshlrev_b64 v[6:7], 2, v[2:3]
	v_add_co_u32_e32 v2, vcc, s74, v6
	v_addc_co_u32_e32 v3, vcc, v4, v7, vcc
	v_mov_b32_e32 v4, s77
	v_add_co_u32_e32 v6, vcc, s76, v6
	v_addc_co_u32_e32 v7, vcc, v4, v7, vcc
	s_waitcnt lgkmcnt(0)
	v_cmp_ne_u32_e32 vcc, 0, v33
	global_store_dwordx2 v[2:3], v[10:11], off
	global_store_dwordx2 v[6:7], v[8:9], off
	s_and_saveexec_b64 s[12:13], vcc
	s_cbranch_execz .LBB3_68
; %bb.67:                               ;   in Loop: Header=BB3_42 Depth=3
	ds_read_b64 v[8:9], v16 offset:8
	ds_read_b64 v[10:11], v17 offset:8
	s_waitcnt lgkmcnt(1)
	global_store_dwordx2 v[2:3], v[8:9], off offset:8
	s_waitcnt lgkmcnt(0)
	global_store_dwordx2 v[6:7], v[10:11], off offset:8
.LBB3_68:                               ;   in Loop: Header=BB3_42 Depth=3
	s_or_b64 exec, exec, s[12:13]
.LBB3_69:                               ;   in Loop: Header=BB3_42 Depth=3
	s_or_b64 exec, exec, s[14:15]
	v_subrev_u32_e32 v2, s88, v29
	v_min_i32_e32 v2, 0x80, v2
	v_add_u32_e32 v3, -1, v2
	v_cmp_eq_u32_e32 vcc, v3, v0
	s_barrier
	s_and_saveexec_b64 s[12:13], vcc
	s_cbranch_execz .LBB3_41
; %bb.70:                               ;   in Loop: Header=BB3_42 Depth=3
	ds_read_b32 v3, v15
	ds_read_b32 v4, v20 offset:4608
	v_add_u32_e32 v2, v5, v2
	s_waitcnt lgkmcnt(0)
	v_add3_u32 v2, v2, v3, v4
	ds_write_b32 v20, v2 offset:4608
	s_branch .LBB3_41
.LBB3_71:                               ;   in Loop: Header=BB3_37 Depth=2
	s_or_b64 exec, exec, s[54:55]
.LBB3_72:                               ;   in Loop: Header=BB3_37 Depth=2
	s_or_b64 exec, exec, s[52:53]
	ds_read_b32 v29, v20 offset:4608
	s_and_saveexec_b64 s[12:13], s[2:3]
	s_cbranch_execz .LBB3_75
; %bb.73:                               ;   in Loop: Header=BB3_37 Depth=2
	ds_read_b64 v[2:3], v20
	s_waitcnt lgkmcnt(0)
	v_cmp_lt_f32_e64 vcc, |v2|, |v3|
	v_sub_f32_e32 v4, v3, v2
	v_cndmask_b32_e32 v2, v2, v3, vcc
	v_mul_f32_e64 v2, v18, |v2|
	v_cmp_lt_f32_e32 vcc, v31, v2
	v_cndmask_b32_e32 v2, v31, v2, vcc
	v_cmp_nlt_f32_e32 vcc, v4, v2
	s_cbranch_vccnz .LBB3_75
; %bb.74:                               ;   in Loop: Header=BB3_37 Depth=2
	ds_write_b8 v20, v21 offset:4613
.LBB3_75:                               ;   in Loop: Header=BB3_37 Depth=2
	s_or_b64 exec, exec, s[12:13]
	s_waitcnt lgkmcnt(0)
	s_barrier
	ds_read_u8 v2, v20 offset:4612
	v_add_u32_e32 v28, 1, v28
	s_waitcnt lgkmcnt(0)
	v_readfirstlane_b32 s12, v2
	s_bitcmp1_b32 s12, 0
	s_cselect_b64 s[12:13], -1, 0
	s_and_b64 vcc, exec, s[12:13]
	s_cbranch_vccz .LBB3_35
; %bb.76:                               ;   in Loop: Header=BB3_37 Depth=2
	ds_read_u8 v2, v20 offset:4613
	v_cmp_ge_i32_e32 vcc, v28, v27
	s_waitcnt lgkmcnt(0)
	v_and_b32_e32 v2, 1, v2
	v_cmp_eq_u32_e64 s[12:13], 1, v2
	s_or_b64 s[14:15], s[12:13], vcc
	s_mov_b64 s[12:13], -1
	s_orn2_b64 s[14:15], s[14:15], exec
	s_branch .LBB3_36
.LBB3_77:                               ;   in Loop: Header=BB3_4 Depth=1
	v_mov_b32_e32 v30, v23
	s_and_saveexec_b64 s[14:15], s[2:3]
	s_cbranch_execnz .LBB3_80
	s_branch .LBB3_98
.LBB3_78:                               ;   in Loop: Header=BB3_4 Depth=1
	s_or_b64 exec, exec, s[48:49]
	s_orn2_b64 s[12:13], s[50:51], exec
.LBB3_79:                               ;   in Loop: Header=BB3_4 Depth=1
	s_or_b64 exec, exec, s[40:41]
	s_and_saveexec_b64 s[14:15], s[2:3]
	s_cbranch_execz .LBB3_98
.LBB3_80:                               ;   in Loop: Header=BB3_4 Depth=1
	s_and_saveexec_b64 s[40:41], s[12:13]
	s_cbranch_execz .LBB3_97
; %bb.81:                               ;   in Loop: Header=BB3_4 Depth=1
	ds_read_u8 v2, v20 offset:4613
	v_cmp_lt_i32_e32 vcc, 0, v29
	s_waitcnt lgkmcnt(0)
	v_readfirstlane_b32 s7, v2
	s_bitcmp1_b32 s7, 0
	s_cselect_b64 s[42:43], -1, 0
	s_and_saveexec_b64 s[44:45], vcc
	s_cbranch_execz .LBB3_95
; %bb.82:                               ;   in Loop: Header=BB3_4 Depth=1
	s_add_i32 s7, s6, 1
	s_not_b32 s16, s6
	s_and_b64 s[12:13], s[42:43], exec
	s_cselect_b32 s16, s7, s16
	s_mov_b32 s17, s16
	s_mov_b32 s7, 0
	s_mov_b64 s[46:47], 0
	v_mov_b32_e32 v10, 0
	s_branch .LBB3_85
.LBB3_83:                               ;   in Loop: Header=BB3_85 Depth=2
	s_or_b64 exec, exec, s[18:19]
.LBB3_84:                               ;   in Loop: Header=BB3_85 Depth=2
	s_or_b64 exec, exec, s[48:49]
	s_add_i32 s7, s7, 1
	v_cmp_eq_u32_e32 vcc, s7, v29
	s_or_b64 s[46:47], vcc, s[46:47]
	s_andn2_b64 exec, exec, s[46:47]
	s_cbranch_execz .LBB3_94
.LBB3_85:                               ;   Parent Loop BB3_4 Depth=1
                                        ; =>  This Loop Header: Depth=2
                                        ;       Child Loop BB3_88 Depth 3
                                        ;       Child Loop BB3_92 Depth 3
	v_lshl_add_u32 v2, s7, 1, v30
	v_ashrrev_i32_e32 v3, 31, v2
	v_lshlrev_b64 v[2:3], 2, v[2:3]
	v_mov_b32_e32 v5, s77
	v_add_co_u32_e32 v4, vcc, s76, v2
	v_addc_co_u32_e32 v5, vcc, v5, v3, vcc
	global_load_dwordx2 v[4:5], v[4:5], off
	s_waitcnt vmcnt(0)
	v_sub_u32_e32 v4, v5, v4
	v_cmp_lt_i32_e32 vcc, 0, v4
	s_and_saveexec_b64 s[48:49], vcc
	s_cbranch_execz .LBB3_84
; %bb.86:                               ;   in Loop: Header=BB3_85 Depth=2
	v_mov_b32_e32 v6, s75
	v_add_co_u32_e32 v2, vcc, s74, v2
	v_addc_co_u32_e32 v3, vcc, v6, v3, vcc
	global_load_dwordx2 v[2:3], v[2:3], off
	v_cmp_lt_u32_e32 vcc, 15, v4
	s_mov_b64 s[50:51], -1
	v_mov_b32_e32 v11, 0
	s_waitcnt vmcnt(0)
	v_add_f32_e32 v2, v2, v3
	v_mul_f32_e32 v6, 0.5, v2
	s_and_saveexec_b64 s[12:13], vcc
	s_cbranch_execz .LBB3_90
; %bb.87:                               ;   in Loop: Header=BB3_85 Depth=2
	v_and_b32_e32 v11, 0x7ffffff0, v4
	v_mov_b32_e32 v7, v6
	v_add_u32_e32 v2, s38, v10
	s_mov_b64 s[50:51], 0
	v_mov_b32_e32 v31, v11
.LBB3_88:                               ;   Parent Loop BB3_4 Depth=1
                                        ;     Parent Loop BB3_85 Depth=2
                                        ; =>    This Inner Loop Header: Depth=3
	v_ashrrev_i32_e32 v3, 31, v2
	v_lshlrev_b64 v[32:33], 2, v[2:3]
	v_mov_b32_e32 v3, s67
	v_add_co_u32_e32 v34, vcc, s66, v32
	v_addc_co_u32_e32 v35, vcc, v3, v33, vcc
	v_mov_b32_e32 v8, v6
	v_mov_b32_e32 v9, v7
	global_store_dwordx4 v[34:35], v[6:9], off
	global_store_dwordx4 v[34:35], v[6:9], off offset:16
	global_store_dwordx4 v[34:35], v[6:9], off offset:32
	;; [unrolled: 1-line block ×3, first 2 shown]
	v_mov_b32_e32 v3, s69
	v_add_co_u32_e32 v8, vcc, s68, v32
	v_addc_co_u32_e32 v9, vcc, v3, v33, vcc
	s_mov_b32 s18, s16
	s_mov_b32 s19, s17
	v_add_u32_e32 v31, -16, v31
	v_pk_mov_b32 v[34:35], s[18:19], s[18:19] op_sel:[0,1]
	v_cmp_eq_u32_e32 vcc, 0, v31
	v_pk_mov_b32 v[32:33], s[16:17], s[16:17] op_sel:[0,1]
	s_or_b64 s[50:51], vcc, s[50:51]
	v_add_u32_e32 v2, 16, v2
	global_store_dwordx4 v[8:9], v[32:35], off
	global_store_dwordx4 v[8:9], v[32:35], off offset:16
	global_store_dwordx4 v[8:9], v[32:35], off offset:32
	;; [unrolled: 1-line block ×3, first 2 shown]
	s_andn2_b64 exec, exec, s[50:51]
	s_cbranch_execnz .LBB3_88
; %bb.89:                               ;   in Loop: Header=BB3_85 Depth=2
	s_or_b64 exec, exec, s[50:51]
	v_cmp_ne_u32_e32 vcc, v4, v11
	v_add_u32_e32 v10, v10, v11
	s_orn2_b64 s[50:51], vcc, exec
.LBB3_90:                               ;   in Loop: Header=BB3_85 Depth=2
	s_or_b64 exec, exec, s[12:13]
	s_and_saveexec_b64 s[18:19], s[50:51]
	s_cbranch_execz .LBB3_83
; %bb.91:                               ;   in Loop: Header=BB3_85 Depth=2
	v_ashrrev_i32_e32 v3, 31, v10
	v_mov_b32_e32 v7, s39
	v_add_co_u32_e32 v2, vcc, s38, v10
	v_addc_co_u32_e32 v3, vcc, v7, v3, vcc
	v_lshlrev_b64 v[8:9], 2, v[2:3]
	v_mov_b32_e32 v3, s67
	v_add_co_u32_e32 v2, vcc, s66, v8
	v_addc_co_u32_e32 v3, vcc, v3, v9, vcc
	v_mov_b32_e32 v7, s69
	v_add_co_u32_e32 v8, vcc, s68, v8
	v_addc_co_u32_e32 v9, vcc, v7, v9, vcc
	s_mov_b64 s[50:51], 0
.LBB3_92:                               ;   Parent Loop BB3_4 Depth=1
                                        ;     Parent Loop BB3_85 Depth=2
                                        ; =>    This Inner Loop Header: Depth=3
	global_store_dword v[2:3], v6, off
	v_add_co_u32_e32 v2, vcc, 4, v2
	v_mov_b32_e32 v7, s16
	v_add_u32_e32 v11, 1, v11
	v_addc_co_u32_e32 v3, vcc, 0, v3, vcc
	global_store_dword v[8:9], v7, off
	v_cmp_ge_i32_e32 vcc, v11, v4
	v_add_co_u32_e64 v8, s[12:13], 4, v8
	v_add_u32_e32 v10, 1, v10
	s_or_b64 s[50:51], vcc, s[50:51]
	v_addc_co_u32_e64 v9, vcc, 0, v9, s[12:13]
	s_andn2_b64 exec, exec, s[50:51]
	s_cbranch_execnz .LBB3_92
; %bb.93:                               ;   in Loop: Header=BB3_85 Depth=2
	s_or_b64 exec, exec, s[50:51]
	s_branch .LBB3_83
.LBB3_94:                               ;   in Loop: Header=BB3_4 Depth=1
	s_or_b64 exec, exec, s[46:47]
.LBB3_95:                               ;   in Loop: Header=BB3_4 Depth=1
	s_or_b64 exec, exec, s[44:45]
	s_xor_b64 s[12:13], s[42:43], -1
	s_and_b64 vcc, exec, s[12:13]
	s_cbranch_vccz .LBB3_97
; %bb.96:                               ;   in Loop: Header=BB3_4 Depth=1
	global_store_dword v20, v21, s[22:23]
.LBB3_97:                               ;   in Loop: Header=BB3_4 Depth=1
	s_or_b64 exec, exec, s[40:41]
.LBB3_98:                               ;   in Loop: Header=BB3_4 Depth=1
	s_or_b64 exec, exec, s[14:15]
	s_branch .LBB3_3
.LBB3_99:                               ;   in Loop: Header=BB3_4 Depth=1
	s_and_saveexec_b64 s[12:13], s[2:3]
	s_cbranch_execz .LBB3_2
; %bb.100:                              ;   in Loop: Header=BB3_4 Depth=1
	s_ashr_i32 s39, s38, 31
	s_lshl_b64 s[14:15], s[38:39], 2
	s_add_u32 s16, s62, s14
	s_addc_u32 s17, s63, s15
	global_load_dword v2, v20, s[16:17]
	s_andn2_b64 vcc, exec, s[34:35]
	s_cbranch_vccnz .LBB3_104
; %bb.101:                              ;   in Loop: Header=BB3_4 Depth=1
	global_load_dword v4, v20, s[20:21]
	s_waitcnt vmcnt(1)
	v_subrev_f32_e32 v3, s30, v2
	s_mov_b64 s[16:17], 0
	s_waitcnt vmcnt(0)
	v_cmp_lt_f32_e32 vcc, v4, v3
	v_cmp_nlt_f32_e64 s[18:19], v4, v3
	s_cbranch_vccnz .LBB3_105
; %bb.102:                              ;   in Loop: Header=BB3_4 Depth=1
	s_andn2_b64 vcc, exec, s[18:19]
	s_cbranch_vccz .LBB3_106
.LBB3_103:                              ;   in Loop: Header=BB3_4 Depth=1
	s_and_b64 vcc, exec, s[16:17]
	s_cbranch_vccz .LBB3_2
	s_branch .LBB3_107
.LBB3_104:                              ;   in Loop: Header=BB3_4 Depth=1
	s_cbranch_execz .LBB3_2
	s_branch .LBB3_107
.LBB3_105:                              ;   in Loop: Header=BB3_4 Depth=1
	global_load_dword v4, v20, s[20:21] offset:4
	s_mov_b64 s[16:17], -1
	s_waitcnt vmcnt(0)
	v_cmp_nge_f32_e64 s[18:19], v4, v3
	s_andn2_b64 vcc, exec, s[18:19]
	s_cbranch_vccnz .LBB3_103
.LBB3_106:                              ;   in Loop: Header=BB3_4 Depth=1
	s_add_u32 s16, s78, s36
	s_addc_u32 s17, s79, s37
	global_store_dword v20, v20, s[16:17]
	s_branch .LBB3_2
.LBB3_107:                              ;   in Loop: Header=BB3_4 Depth=1
	s_add_u32 s16, s66, s14
	s_addc_u32 s17, s67, s15
	s_waitcnt vmcnt(0)
	global_store_dword v20, v2, s[16:17]
	s_add_u32 s16, s78, s36
	s_addc_u32 s17, s79, s37
	s_add_i32 s7, s6, 1
	s_add_u32 s14, s68, s14
	s_addc_u32 s15, s69, s15
	v_mov_b32_e32 v2, s7
	global_store_dword v20, v21, s[16:17]
	global_store_dword v20, v2, s[14:15]
	s_branch .LBB3_2
.LBB3_108:
	s_endpgm
	.section	.rodata,"a",@progbits
	.p2align	6, 0x0
	.amdhsa_kernel _ZN9rocsolver6v33100L22stebz_bisection_kernelIfPfEEv15rocblas_erange_iT_T0_iiS5_iiPiPS4_lS6_lS6_lS6_S6_S7_S7_S7_S7_S6_S4_S4_
		.amdhsa_group_segment_fixed_size 4616
		.amdhsa_private_segment_fixed_size 0
		.amdhsa_kernarg_size 168
		.amdhsa_user_sgpr_count 6
		.amdhsa_user_sgpr_private_segment_buffer 1
		.amdhsa_user_sgpr_dispatch_ptr 0
		.amdhsa_user_sgpr_queue_ptr 0
		.amdhsa_user_sgpr_kernarg_segment_ptr 1
		.amdhsa_user_sgpr_dispatch_id 0
		.amdhsa_user_sgpr_flat_scratch_init 0
		.amdhsa_user_sgpr_kernarg_preload_length 0
		.amdhsa_user_sgpr_kernarg_preload_offset 0
		.amdhsa_user_sgpr_private_segment_size 0
		.amdhsa_uses_dynamic_stack 0
		.amdhsa_system_sgpr_private_segment_wavefront_offset 0
		.amdhsa_system_sgpr_workgroup_id_x 1
		.amdhsa_system_sgpr_workgroup_id_y 1
		.amdhsa_system_sgpr_workgroup_id_z 0
		.amdhsa_system_sgpr_workgroup_info 0
		.amdhsa_system_vgpr_workitem_id 0
		.amdhsa_next_free_vgpr 38
		.amdhsa_next_free_sgpr 92
		.amdhsa_accum_offset 40
		.amdhsa_reserve_vcc 1
		.amdhsa_reserve_flat_scratch 0
		.amdhsa_float_round_mode_32 0
		.amdhsa_float_round_mode_16_64 0
		.amdhsa_float_denorm_mode_32 3
		.amdhsa_float_denorm_mode_16_64 3
		.amdhsa_dx10_clamp 1
		.amdhsa_ieee_mode 1
		.amdhsa_fp16_overflow 0
		.amdhsa_tg_split 0
		.amdhsa_exception_fp_ieee_invalid_op 0
		.amdhsa_exception_fp_denorm_src 0
		.amdhsa_exception_fp_ieee_div_zero 0
		.amdhsa_exception_fp_ieee_overflow 0
		.amdhsa_exception_fp_ieee_underflow 0
		.amdhsa_exception_fp_ieee_inexact 0
		.amdhsa_exception_int_div_zero 0
	.end_amdhsa_kernel
	.section	.text._ZN9rocsolver6v33100L22stebz_bisection_kernelIfPfEEv15rocblas_erange_iT_T0_iiS5_iiPiPS4_lS6_lS6_lS6_S6_S7_S7_S7_S7_S6_S4_S4_,"axG",@progbits,_ZN9rocsolver6v33100L22stebz_bisection_kernelIfPfEEv15rocblas_erange_iT_T0_iiS5_iiPiPS4_lS6_lS6_lS6_S6_S7_S7_S7_S7_S6_S4_S4_,comdat
.Lfunc_end3:
	.size	_ZN9rocsolver6v33100L22stebz_bisection_kernelIfPfEEv15rocblas_erange_iT_T0_iiS5_iiPiPS4_lS6_lS6_lS6_S6_S7_S7_S7_S7_S6_S4_S4_, .Lfunc_end3-_ZN9rocsolver6v33100L22stebz_bisection_kernelIfPfEEv15rocblas_erange_iT_T0_iiS5_iiPiPS4_lS6_lS6_lS6_S6_S7_S7_S7_S7_S6_S4_S4_
                                        ; -- End function
	.section	.AMDGPU.csdata,"",@progbits
; Kernel info:
; codeLenInByte = 4432
; NumSgprs: 96
; NumVgprs: 38
; NumAgprs: 0
; TotalNumVgprs: 38
; ScratchSize: 0
; MemoryBound: 0
; FloatMode: 240
; IeeeMode: 1
; LDSByteSize: 4616 bytes/workgroup (compile time only)
; SGPRBlocks: 11
; VGPRBlocks: 4
; NumSGPRsForWavesPerEU: 96
; NumVGPRsForWavesPerEU: 38
; AccumOffset: 40
; Occupancy: 7
; WaveLimiterHint : 1
; COMPUTE_PGM_RSRC2:SCRATCH_EN: 0
; COMPUTE_PGM_RSRC2:USER_SGPR: 6
; COMPUTE_PGM_RSRC2:TRAP_HANDLER: 0
; COMPUTE_PGM_RSRC2:TGID_X_EN: 1
; COMPUTE_PGM_RSRC2:TGID_Y_EN: 1
; COMPUTE_PGM_RSRC2:TGID_Z_EN: 0
; COMPUTE_PGM_RSRC2:TIDIG_COMP_CNT: 0
; COMPUTE_PGM_RSRC3_GFX90A:ACCUM_OFFSET: 9
; COMPUTE_PGM_RSRC3_GFX90A:TG_SPLIT: 0
	.section	.text._ZN9rocsolver6v33100L22stebz_synthesis_kernelIfPfEEv15rocblas_erange_15rocblas_eorder_iiiT0_iiPiS6_PT_lS6_lS6_liS6_S8_S8_S8_S8_S6_S7_,"axG",@progbits,_ZN9rocsolver6v33100L22stebz_synthesis_kernelIfPfEEv15rocblas_erange_15rocblas_eorder_iiiT0_iiPiS6_PT_lS6_lS6_liS6_S8_S8_S8_S8_S6_S7_,comdat
	.globl	_ZN9rocsolver6v33100L22stebz_synthesis_kernelIfPfEEv15rocblas_erange_15rocblas_eorder_iiiT0_iiPiS6_PT_lS6_lS6_liS6_S8_S8_S8_S8_S6_S7_ ; -- Begin function _ZN9rocsolver6v33100L22stebz_synthesis_kernelIfPfEEv15rocblas_erange_15rocblas_eorder_iiiT0_iiPiS6_PT_lS6_lS6_liS6_S8_S8_S8_S8_S6_S7_
	.p2align	8
	.type	_ZN9rocsolver6v33100L22stebz_synthesis_kernelIfPfEEv15rocblas_erange_15rocblas_eorder_iiiT0_iiPiS6_PT_lS6_lS6_liS6_S8_S8_S8_S8_S6_S7_,@function
_ZN9rocsolver6v33100L22stebz_synthesis_kernelIfPfEEv15rocblas_erange_15rocblas_eorder_iiiT0_iiPiS6_PT_lS6_lS6_liS6_S8_S8_S8_S8_S6_S7_: ; @_ZN9rocsolver6v33100L22stebz_synthesis_kernelIfPfEEv15rocblas_erange_15rocblas_eorder_iiiT0_iiPiS6_PT_lS6_lS6_liS6_S8_S8_S8_S8_S6_S7_
; %bb.0:
	s_load_dword s0, s[4:5], 0xb4
	s_load_dword s1, s[4:5], 0x68
	s_waitcnt lgkmcnt(0)
	s_and_b32 s0, s0, 0xffff
	s_mul_i32 s6, s6, s0
	v_add_u32_e32 v8, s6, v0
	v_cmp_gt_i32_e32 vcc, s1, v8
	s_and_saveexec_b64 s[0:1], vcc
	s_cbranch_execz .LBB4_58
; %bb.1:
	s_load_dwordx16 s[8:23], s[4:5], 0x28
	v_ashrrev_i32_e32 v9, 31, v8
	v_lshlrev_b64 v[4:5], 2, v[8:9]
	s_waitcnt lgkmcnt(0)
	v_mov_b32_e32 v1, s11
	v_add_co_u32_e32 v0, vcc, s10, v4
	v_addc_co_u32_e32 v1, vcc, v1, v5, vcc
	global_load_dword v27, v[0:1], off
	v_mul_lo_u32 v6, v8, s15
	v_mul_lo_u32 v7, v9, s14
	v_mad_u64_u32 v[0:1], s[0:1], v8, s14, 0
	v_add3_u32 v1, v1, v6, v7
	v_mul_lo_u32 v13, v8, s19
	v_mul_lo_u32 v14, v9, s18
	v_mad_u64_u32 v[2:3], s[0:1], v8, s18, 0
	v_lshlrev_b64 v[6:7], 2, v[0:1]
	s_load_dwordx4 s[36:39], s[4:5], 0x0
	s_load_dword s33, s[4:5], 0x10
	s_load_dwordx8 s[24:31], s[4:5], 0x70
	v_mov_b32_e32 v16, s13
	v_mul_lo_u32 v15, v8, s23
	v_mul_lo_u32 v9, v9, s22
	v_mad_u64_u32 v[10:11], s[0:1], v8, s22, 0
	v_add3_u32 v3, v3, v13, v14
	v_add_co_u32_e32 v0, vcc, s12, v6
	v_add3_u32 v11, v11, v15, v9
	v_lshlrev_b64 v[14:15], 2, v[2:3]
	v_addc_co_u32_e32 v1, vcc, v16, v7, vcc
	v_mov_b32_e32 v17, s17
	v_add_co_u32_e32 v2, vcc, s16, v14
	s_waitcnt lgkmcnt(0)
	v_mul_lo_u32 v12, v8, s38
	v_lshlrev_b64 v[10:11], 2, v[10:11]
	v_addc_co_u32_e32 v3, vcc, v17, v15, vcc
	v_mov_b32_e32 v18, s21
	v_ashrrev_i32_e32 v13, 31, v12
	v_add_co_u32_e32 v24, vcc, s20, v10
	v_lshlrev_b64 v[12:13], 2, v[12:13]
	v_addc_co_u32_e32 v25, vcc, v18, v11, vcc
	v_mov_b32_e32 v19, s25
	v_add_co_u32_e32 v9, vcc, s24, v12
	v_addc_co_u32_e32 v28, vcc, v19, v13, vcc
	s_cmpk_eq_i32 s36, 0xe9
	s_waitcnt vmcnt(0)
	v_cmp_lt_i32_e32 vcc, 0, v27
	v_cmp_gt_i32_e64 s[0:1], 1, v27
	s_cbranch_scc1 .LBB4_11
; %bb.2:
	v_mov_b32_e32 v12, 0
	s_and_saveexec_b64 s[2:3], vcc
	s_cbranch_execz .LBB4_13
; %bb.3:
	v_add_co_u32_e32 v26, vcc, -4, v24
	s_mov_b32 s11, 0
	v_addc_co_u32_e32 v29, vcc, -1, v25, vcc
	s_mov_b64 s[6:7], 0
	v_mov_b32_e32 v12, 0
	s_mov_b32 s10, s11
	s_branch .LBB4_5
.LBB4_4:                                ;   in Loop: Header=BB4_5 Depth=1
	s_or_b64 exec, exec, s[14:15]
	s_add_i32 s10, s10, 1
	v_cmp_eq_u32_e32 vcc, s10, v27
	s_or_b64 s[6:7], vcc, s[6:7]
	s_andn2_b64 exec, exec, s[6:7]
	s_cbranch_execz .LBB4_12
.LBB4_5:                                ; =>This Loop Header: Depth=1
                                        ;     Child Loop BB4_9 Depth 2
	s_cmp_eq_u32 s10, 0
	s_mov_b64 s[14:15], 0
	v_mov_b32_e32 v16, 0
	s_cbranch_scc1 .LBB4_7
; %bb.6:                                ;   in Loop: Header=BB4_5 Depth=1
	s_lshl_b64 s[14:15], s[10:11], 2
	v_mov_b32_e32 v11, s15
	v_add_co_u32_e32 v10, vcc, s14, v26
	v_addc_co_u32_e32 v11, vcc, v29, v11, vcc
	global_load_dword v16, v[10:11], off
	s_mov_b64 s[14:15], s[10:11]
.LBB4_7:                                ;   in Loop: Header=BB4_5 Depth=1
	s_lshl_b64 s[14:15], s[14:15], 2
	v_mov_b32_e32 v11, s15
	v_add_co_u32_e32 v10, vcc, s14, v9
	v_addc_co_u32_e32 v11, vcc, v28, v11, vcc
	global_load_dword v13, v[10:11], off
	s_waitcnt vmcnt(0)
	v_cmp_lt_i32_e32 vcc, 0, v13
	s_and_saveexec_b64 s[14:15], vcc
	s_cbranch_execz .LBB4_4
; %bb.8:                                ;   in Loop: Header=BB4_5 Depth=1
	v_ashrrev_i32_e32 v17, 31, v16
	v_ashrrev_i32_e32 v13, 31, v12
	v_lshlrev_b64 v[16:17], 2, v[16:17]
	v_lshlrev_b64 v[18:19], 2, v[12:13]
	s_mov_b32 s20, 0
	s_mov_b64 s[18:19], 0
	v_pk_mov_b32 v[20:21], v[2:3], v[2:3] op_sel:[0,1]
	v_pk_mov_b32 v[22:23], v[0:1], v[0:1] op_sel:[0,1]
.LBB4_9:                                ;   Parent Loop BB4_5 Depth=1
                                        ; =>  This Inner Loop Header: Depth=2
	v_add_co_u32_e32 v30, vcc, v20, v16
	v_addc_co_u32_e32 v31, vcc, v21, v17, vcc
	global_load_dword v13, v[30:31], off
	v_add_co_u32_e32 v30, vcc, v20, v18
	v_addc_co_u32_e32 v31, vcc, v21, v19, vcc
	v_add_co_u32_e32 v32, vcc, v22, v16
	v_addc_co_u32_e32 v33, vcc, v23, v17, vcc
	global_load_dword v32, v[32:33], off
	s_add_i32 s20, s20, 1
	s_waitcnt vmcnt(1)
	global_store_dword v[30:31], v13, off
	global_load_dword v34, v[10:11], off
	v_add_co_u32_e32 v30, vcc, v22, v18
	v_addc_co_u32_e32 v31, vcc, v23, v19, vcc
	v_add_co_u32_e32 v22, vcc, 4, v22
	v_addc_co_u32_e32 v23, vcc, 0, v23, vcc
	;; [unrolled: 2-line block ×3, first 2 shown]
	v_add_u32_e32 v13, s20, v12
	s_waitcnt vmcnt(2)
	global_store_dword v[30:31], v32, off
	s_waitcnt vmcnt(1)
	v_cmp_ge_i32_e32 vcc, s20, v34
	s_or_b64 s[18:19], vcc, s[18:19]
	s_andn2_b64 exec, exec, s[18:19]
	s_cbranch_execnz .LBB4_9
; %bb.10:                               ;   in Loop: Header=BB4_5 Depth=1
	s_or_b64 exec, exec, s[18:19]
	v_mov_b32_e32 v12, v13
	s_branch .LBB4_4
.LBB4_11:
                                        ; implicit-def: $vgpr12
	s_branch .LBB4_14
.LBB4_12:
	s_or_b64 exec, exec, s[6:7]
.LBB4_13:
	s_or_b64 exec, exec, s[2:3]
	s_cbranch_execnz .LBB4_50
.LBB4_14:
	v_mov_b32_e32 v11, s27
	v_add_co_u32_e32 v10, vcc, s26, v4
	v_addc_co_u32_e32 v11, vcc, v11, v5, vcc
	global_load_dword v26, v[10:11], off
	s_load_dwordx4 s[20:23], s[4:5], 0x90
	v_lshlrev_b32_e32 v16, 1, v8
	v_mul_lo_u32 v12, v16, s38
	v_ashrrev_i32_e32 v13, 31, v12
                                        ; implicit-def: $sgpr10
                                        ; implicit-def: $sgpr6_sgpr7
	s_and_saveexec_b64 s[2:3], s[0:1]
	s_xor_b64 s[0:1], exec, s[2:3]
; %bb.15:
	s_ashr_i32 s7, s38, 31
	s_mov_b32 s6, s38
	s_mov_b32 s10, 0
                                        ; implicit-def: $vgpr27
                                        ; implicit-def: $vgpr9
                                        ; implicit-def: $vgpr28
                                        ; implicit-def: $vgpr24
                                        ; implicit-def: $vgpr25
                                        ; implicit-def: $vgpr14_vgpr15
; %bb.16:
	s_or_saveexec_b64 s[2:3], s[0:1]
	v_mov_b32_e32 v10, s10
	v_pk_mov_b32 v[18:19], s[6:7], s[6:7] op_sel:[0,1]
	v_lshlrev_b64 v[12:13], 2, v[12:13]
	s_xor_b64 exec, exec, s[2:3]
	s_cbranch_execz .LBB4_26
; %bb.17:
	v_add_co_u32_e32 v17, vcc, -4, v24
	v_addc_co_u32_e32 v29, vcc, -1, v25, vcc
	v_mov_b32_e32 v10, s13
	v_add_co_u32_e32 v30, vcc, s12, v6
	v_addc_co_u32_e32 v31, vcc, v10, v7, vcc
	v_mov_b32_e32 v10, s17
	v_add_co_u32_e32 v32, vcc, s16, v14
	v_addc_co_u32_e32 v33, vcc, v10, v15, vcc
	s_waitcnt lgkmcnt(0)
	v_mov_b32_e32 v10, s21
	v_add_co_u32_e32 v34, vcc, s20, v12
	v_addc_co_u32_e32 v35, vcc, v10, v13, vcc
	s_ashr_i32 s7, s38, 31
	s_mov_b32 s6, s38
	v_mov_b32_e32 v10, s23
	v_add_co_u32_e32 v36, vcc, s22, v12
	s_mov_b32 s19, 0
	s_lshl_b64 s[10:11], s[6:7], 2
	v_addc_co_u32_e32 v37, vcc, v10, v13, vcc
	s_mov_b64 s[14:15], 0
	v_mov_b32_e32 v10, 0
	s_mov_b32 s18, s19
	s_branch .LBB4_19
.LBB4_18:                               ;   in Loop: Header=BB4_19 Depth=1
	s_or_b64 exec, exec, s[24:25]
	s_add_i32 s18, s18, 1
	v_cmp_eq_u32_e32 vcc, s18, v27
	s_or_b64 s[14:15], vcc, s[14:15]
	s_andn2_b64 exec, exec, s[14:15]
	s_cbranch_execz .LBB4_25
.LBB4_19:                               ; =>This Loop Header: Depth=1
                                        ;     Child Loop BB4_23 Depth 2
	s_cmp_eq_u32 s18, 0
	s_mov_b64 s[0:1], 0
	v_mov_b32_e32 v18, 0
	s_cbranch_scc1 .LBB4_21
; %bb.20:                               ;   in Loop: Header=BB4_19 Depth=1
	s_lshl_b64 s[0:1], s[18:19], 2
	v_mov_b32_e32 v11, s1
	v_add_co_u32_e32 v14, vcc, s0, v17
	v_addc_co_u32_e32 v15, vcc, v29, v11, vcc
	global_load_dword v18, v[14:15], off
	s_mov_b64 s[0:1], s[18:19]
.LBB4_21:                               ;   in Loop: Header=BB4_19 Depth=1
	s_lshl_b64 s[0:1], s[0:1], 2
	v_mov_b32_e32 v11, s1
	v_add_co_u32_e32 v14, vcc, s0, v9
	v_addc_co_u32_e32 v15, vcc, v28, v11, vcc
	global_load_dword v11, v[14:15], off
	s_waitcnt vmcnt(0)
	v_cmp_lt_i32_e32 vcc, 0, v11
	s_and_saveexec_b64 s[24:25], vcc
	s_cbranch_execz .LBB4_18
; %bb.22:                               ;   in Loop: Header=BB4_19 Depth=1
	v_ashrrev_i32_e32 v19, 31, v18
	v_lshlrev_b64 v[20:21], 2, v[18:19]
	v_add_co_u32_e32 v18, vcc, v30, v20
	v_addc_co_u32_e32 v19, vcc, v31, v21, vcc
	v_add_co_u32_e32 v20, vcc, v32, v20
	v_ashrrev_i32_e32 v11, 31, v10
	v_addc_co_u32_e32 v21, vcc, v33, v21, vcc
	v_lshlrev_b64 v[24:25], 2, v[10:11]
	v_add_co_u32_e32 v22, vcc, v34, v24
	v_addc_co_u32_e32 v23, vcc, v35, v25, vcc
	v_add_co_u32_e32 v24, vcc, v36, v24
	v_addc_co_u32_e32 v25, vcc, v37, v25, vcc
	s_mov_b32 s34, 0
	s_mov_b64 s[26:27], 0
.LBB4_23:                               ;   Parent Loop BB4_19 Depth=1
                                        ; =>  This Inner Loop Header: Depth=2
	global_load_dword v11, v[20:21], off
	s_add_i32 s34, s34, 1
	s_waitcnt vmcnt(0)
	global_store_dword v[24:25], v11, off
	global_load_dword v40, v[14:15], off
	global_load_dword v41, v[18:19], off
	v_add_co_u32_e32 v18, vcc, 4, v18
	v_addc_co_u32_e32 v19, vcc, 0, v19, vcc
	v_add_co_u32_e32 v20, vcc, 4, v20
	v_addc_co_u32_e32 v21, vcc, 0, v21, vcc
	v_mov_b32_e32 v11, s11
	v_add_co_u32_e32 v38, vcc, s10, v22
	v_addc_co_u32_e32 v39, vcc, v23, v11, vcc
	v_add_u32_e32 v11, s34, v10
	s_waitcnt vmcnt(0)
	global_store_dword v[22:23], v41, off
	global_store_dword v[38:39], v41, off
	v_add_co_u32_e32 v22, vcc, 4, v22
	v_addc_co_u32_e32 v23, vcc, 0, v23, vcc
	v_add_co_u32_e32 v24, vcc, 4, v24
	v_cmp_ge_i32_e64 s[0:1], s34, v40
	s_or_b64 s[26:27], s[0:1], s[26:27]
	v_addc_co_u32_e32 v25, vcc, 0, v25, vcc
	s_andn2_b64 exec, exec, s[26:27]
	s_cbranch_execnz .LBB4_23
; %bb.24:                               ;   in Loop: Header=BB4_19 Depth=1
	s_or_b64 exec, exec, s[26:27]
	v_mov_b32_e32 v10, v11
	s_branch .LBB4_18
.LBB4_25:
	s_or_b64 exec, exec, s[14:15]
	v_pk_mov_b32 v[18:19], s[6:7], s[6:7] op_sel:[0,1]
.LBB4_26:
	s_or_b64 exec, exec, s[2:3]
	s_waitcnt lgkmcnt(0)
	v_mov_b32_e32 v9, s21
	v_add_co_u32_e32 v11, vcc, s20, v12
	v_addc_co_u32_e32 v24, vcc, v9, v13, vcc
	v_mov_b32_e32 v9, s23
	v_add_co_u32_e32 v25, vcc, s22, v12
	v_addc_co_u32_e32 v27, vcc, v9, v13, vcc
	v_lshlrev_b64 v[18:19], 2, v[18:19]
	v_add_co_u32_e32 v14, vcc, v11, v18
	v_addc_co_u32_e32 v15, vcc, v24, v19, vcc
	s_mov_b32 s2, 1
	v_cmp_lt_i32_e32 vcc, 1, v10
	s_and_saveexec_b64 s[6:7], vcc
	s_cbranch_execz .LBB4_34
; %bb.27:
	v_add_co_u32_e32 v9, vcc, v25, v18
	v_addc_co_u32_e32 v17, vcc, v27, v19, vcc
	v_add_co_u32_e32 v28, vcc, -4, v14
	v_addc_co_u32_e32 v29, vcc, -1, v15, vcc
	v_add_co_u32_e32 v30, vcc, -4, v9
	v_addc_co_u32_e32 v31, vcc, -1, v17, vcc
	v_add_co_u32_e32 v12, vcc, v18, v12
	v_addc_co_u32_e32 v13, vcc, v19, v13, vcc
	s_cmp_lg_u64 s[22:23], 0
	v_mov_b32_e32 v18, s21
	v_add_co_u32_e32 v12, vcc, s20, v12
	v_addc_co_u32_e32 v13, vcc, v13, v18, vcc
	s_cselect_b64 s[0:1], -1, 0
	v_add_co_u32_e32 v12, vcc, 4, v12
	v_cndmask_b32_e64 v18, 0, 1, s[0:1]
	s_mov_b64 s[10:11], 0
	v_addc_co_u32_e32 v13, vcc, 0, v13, vcc
	v_cmp_ne_u32_e64 s[0:1], 1, v18
	s_branch .LBB4_29
.LBB4_28:                               ;   in Loop: Header=BB4_29 Depth=1
	s_or_b64 exec, exec, s[18:19]
	s_add_i32 s2, s2, 1
	v_cmp_eq_u32_e32 vcc, s2, v10
	s_or_b64 s[10:11], vcc, s[10:11]
	v_add_co_u32_e32 v12, vcc, 4, v12
	v_addc_co_u32_e32 v13, vcc, 0, v13, vcc
	s_andn2_b64 exec, exec, s[10:11]
	s_cbranch_execz .LBB4_34
.LBB4_29:                               ; =>This Loop Header: Depth=1
                                        ;     Child Loop BB4_30 Depth 2
	s_ashr_i32 s3, s2, 31
	s_lshl_b64 s[14:15], s[2:3], 2
	v_mov_b32_e32 v19, s15
	v_add_co_u32_e32 v18, vcc, s14, v28
	v_addc_co_u32_e32 v19, vcc, v29, v19, vcc
	global_load_dword v32, v[18:19], off
	s_add_i32 s3, s2, -1
	v_mov_b32_e32 v20, s3
	s_mov_b64 s[18:19], 0
	v_pk_mov_b32 v[22:23], v[12:13], v[12:13] op_sel:[0,1]
	s_mov_b32 s20, s2
	s_waitcnt vmcnt(0)
	v_mov_b32_e32 v33, v32
.LBB4_30:                               ;   Parent Loop BB4_29 Depth=1
                                        ; =>  This Inner Loop Header: Depth=2
	global_load_dword v21, v[22:23], off
	v_add_co_u32_e32 v22, vcc, 4, v22
	v_mov_b32_e32 v34, s20
	s_add_i32 s20, s20, 1
	v_addc_co_u32_e32 v23, vcc, 0, v23, vcc
	v_cmp_ge_i32_e32 vcc, s20, v10
	s_or_b64 s[18:19], vcc, s[18:19]
	s_waitcnt vmcnt(0)
	v_cmp_lt_f32_e32 vcc, v21, v33
	v_cndmask_b32_e32 v33, v33, v21, vcc
	v_cndmask_b32_e32 v20, v20, v34, vcc
	s_andn2_b64 exec, exec, s[18:19]
	s_cbranch_execnz .LBB4_30
; %bb.31:                               ;   in Loop: Header=BB4_29 Depth=1
	s_or_b64 exec, exec, s[18:19]
	v_cmp_ne_u32_e32 vcc, s3, v20
	s_and_saveexec_b64 s[18:19], vcc
	s_cbranch_execz .LBB4_28
; %bb.32:                               ;   in Loop: Header=BB4_29 Depth=1
	v_ashrrev_i32_e32 v21, 31, v20
	v_lshlrev_b64 v[20:21], 2, v[20:21]
	v_add_co_u32_e32 v22, vcc, v14, v20
	v_addc_co_u32_e32 v23, vcc, v15, v21, vcc
	s_and_b64 vcc, exec, s[0:1]
	global_store_dword v[22:23], v32, off
	global_store_dword v[18:19], v33, off
	s_cbranch_vccnz .LBB4_28
; %bb.33:                               ;   in Loop: Header=BB4_29 Depth=1
	v_mov_b32_e32 v19, s15
	v_add_co_u32_e32 v18, vcc, s14, v30
	v_addc_co_u32_e32 v19, vcc, v31, v19, vcc
	v_add_co_u32_e32 v20, vcc, v9, v20
	v_addc_co_u32_e32 v21, vcc, v17, v21, vcc
	global_load_dword v22, v[18:19], off
	global_load_dword v23, v[20:21], off
	s_waitcnt vmcnt(1)
	global_store_dword v[20:21], v22, off
	s_waitcnt vmcnt(1)
	global_store_dword v[18:19], v23, off
	s_branch .LBB4_28
.LBB4_34:
	s_or_b64 exec, exec, s[6:7]
	s_mov_b32 s11, 0
	v_cmp_lt_i32_e32 vcc, 0, v10
	v_mov_b32_e32 v12, 0
	s_and_saveexec_b64 s[6:7], vcc
	s_cbranch_execz .LBB4_49
; %bb.35:
	s_load_dwordx4 s[0:3], s[4:5], 0x18
	v_ashrrev_i32_e32 v17, 31, v16
	v_add_u32_e32 v30, -1, v10
	s_mov_b32 s10, s11
	s_waitcnt lgkmcnt(0)
	s_ashr_i32 s5, s2, 31
	s_mov_b32 s4, s2
	v_mad_i64_i32 v[12:13], s[2:3], v8, s3, 0
	s_lshl_b64 s[2:3], s[4:5], 2
	s_add_u32 s0, s0, s2
	v_lshlrev_b64 v[12:13], 2, v[12:13]
	s_addc_u32 s1, s1, s3
	s_add_i32 s26, s38, -1
	v_mov_b32_e32 v9, s1
	v_add_co_u32_e32 v18, vcc, s0, v12
	v_mul_lo_u32 v8, v8, s26
	v_addc_co_u32_e32 v19, vcc, v9, v13, vcc
	v_ashrrev_i32_e32 v9, 31, v8
	v_lshlrev_b64 v[8:9], 2, v[8:9]
	v_mov_b32_e32 v12, s29
	v_add_co_u32_e32 v8, vcc, s28, v8
	v_addc_co_u32_e32 v9, vcc, v12, v9, vcc
	v_lshlrev_b64 v[12:13], 2, v[16:17]
	v_mov_b32_e32 v16, s31
	v_add_co_u32_e32 v28, vcc, s30, v12
	s_cmp_gt_i32 s38, 1
	v_addc_co_u32_e32 v29, vcc, v16, v13, vcc
	s_cselect_b64 s[0:1], -1, 0
	v_add_co_u32_e32 v16, vcc, 4, v18
	v_cndmask_b32_e64 v13, 0, 1, s[0:1]
	v_addc_co_u32_e32 v17, vcc, 0, v19, vcc
	s_mov_b64 s[4:5], 0
	v_mov_b32_e32 v12, 0
	v_cmp_ne_u32_e64 s[0:1], 1, v13
	s_branch .LBB4_38
.LBB4_36:                               ;   in Loop: Header=BB4_38 Depth=1
	s_or_b64 exec, exec, s[2:3]
.LBB4_37:                               ;   in Loop: Header=BB4_38 Depth=1
	s_or_b64 exec, exec, s[18:19]
	s_add_i32 s10, s10, 1
	v_cmp_eq_u32_e32 vcc, s10, v10
	s_or_b64 s[4:5], vcc, s[4:5]
	s_andn2_b64 exec, exec, s[4:5]
	s_cbranch_execz .LBB4_48
.LBB4_38:                               ; =>This Loop Header: Depth=1
                                        ;     Child Loop BB4_40 Depth 2
                                        ;     Child Loop BB4_45 Depth 2
	s_lshl_b64 s[14:15], s[10:11], 2
	v_mov_b32_e32 v13, s15
	v_add_co_u32_e32 v20, vcc, s14, v11
	v_addc_co_u32_e32 v21, vcc, v24, v13, vcc
	global_load_dword v31, v[20:21], off
	s_mov_b32 s27, 0
	s_mov_b64 s[18:19], 0
	v_pk_mov_b32 v[22:23], v[14:15], v[14:15] op_sel:[0,1]
                                        ; implicit-def: $sgpr2_sgpr3
                                        ; implicit-def: $sgpr22_sgpr23
                                        ; implicit-def: $sgpr20_sgpr21
	s_branch .LBB4_40
.LBB4_39:                               ;   in Loop: Header=BB4_40 Depth=2
	s_or_b64 exec, exec, s[24:25]
	s_and_b64 s[24:25], exec, s[22:23]
	s_or_b64 s[18:19], s[24:25], s[18:19]
	s_andn2_b64 s[2:3], s[2:3], exec
	s_and_b64 s[24:25], s[20:21], exec
	v_mov_b32_e32 v32, s27
	s_or_b64 s[2:3], s[2:3], s[24:25]
	s_mov_b32 s27, s28
	s_andn2_b64 exec, exec, s[18:19]
	s_cbranch_execz .LBB4_42
.LBB4_40:                               ;   Parent Loop BB4_38 Depth=1
                                        ; =>  This Inner Loop Header: Depth=2
	global_load_dword v13, v[22:23], off
	v_pk_mov_b32 v[20:21], v[22:23], v[22:23] op_sel:[0,1]
	s_or_b64 s[20:21], s[20:21], exec
	s_or_b64 s[22:23], s[22:23], exec
                                        ; implicit-def: $sgpr28
                                        ; implicit-def: $vgpr22_vgpr23
	s_waitcnt vmcnt(0)
	v_cmp_neq_f32_e32 vcc, v31, v13
	s_and_saveexec_b64 s[24:25], vcc
	s_cbranch_execz .LBB4_39
; %bb.41:                               ;   in Loop: Header=BB4_40 Depth=2
	v_add_co_u32_e32 v22, vcc, 4, v20
	s_add_i32 s28, s27, 1
	v_addc_co_u32_e32 v23, vcc, 0, v21, vcc
	v_cmp_eq_u32_e32 vcc, s28, v10
	s_andn2_b64 s[22:23], s[22:23], exec
	s_and_b64 s[30:31], vcc, exec
	s_andn2_b64 s[20:21], s[20:21], exec
	s_or_b64 s[22:23], s[22:23], s[30:31]
	s_branch .LBB4_39
.LBB4_42:                               ;   in Loop: Header=BB4_38 Depth=1
	s_or_b64 exec, exec, s[18:19]
	s_and_saveexec_b64 s[18:19], s[2:3]
	s_xor_b64 s[18:19], exec, s[18:19]
	s_cbranch_execz .LBB4_37
; %bb.43:                               ;   in Loop: Header=BB4_38 Depth=1
	v_cmp_eq_u32_e32 vcc, v32, v30
	v_cndmask_b32_e32 v21, v21, v29, vcc
	v_cndmask_b32_e32 v20, v20, v28, vcc
	global_load_dword v22, v[20:21], off offset:4
	global_load_dword v23, v[18:19], off
	s_and_b64 vcc, exec, s[0:1]
	s_waitcnt vmcnt(1)
	v_sub_f32_e32 v13, v22, v13
	v_fma_f32 v32, 0.5, v13, v31
	s_waitcnt vmcnt(0)
	v_sub_f32_e32 v20, v23, v32
	v_cmp_le_f32_e64 s[2:3], v20, v26
	v_cndmask_b32_e64 v13, 0, 1, s[2:3]
	s_cbranch_vccnz .LBB4_46
; %bb.44:                               ;   in Loop: Header=BB4_38 Depth=1
	v_cmp_gt_f32_e64 s[20:21], v20, -v26
	s_and_b64 s[2:3], s[2:3], s[20:21]
	v_cndmask_b32_e64 v33, v20, -v26, s[2:3]
	v_pk_mov_b32 v[20:21], v[16:17], v[16:17] op_sel:[0,1]
	v_pk_mov_b32 v[22:23], v[8:9], v[8:9] op_sel:[0,1]
	s_mov_b32 s20, s26
.LBB4_45:                               ;   Parent Loop BB4_38 Depth=1
                                        ; =>  This Inner Loop Header: Depth=2
	global_load_dword v34, v[22:23], off
	global_load_dword v35, v[20:21], off
	v_add_co_u32_e32 v22, vcc, 4, v22
	v_addc_co_u32_e32 v23, vcc, 0, v23, vcc
	v_add_co_u32_e32 v20, vcc, 4, v20
	v_addc_co_u32_e32 v21, vcc, 0, v21, vcc
	s_add_i32 s20, s20, -1
	s_waitcnt vmcnt(1)
	v_div_scale_f32 v36, s[2:3], v33, v33, v34
	v_rcp_f32_e32 v38, v36
	v_div_scale_f32 v37, vcc, v34, v33, v34
	s_waitcnt vmcnt(0)
	v_sub_f32_e32 v35, v35, v32
	v_fma_f32 v39, -v36, v38, 1.0
	v_fmac_f32_e32 v38, v39, v38
	v_mul_f32_e32 v39, v37, v38
	v_fma_f32 v40, -v36, v39, v37
	v_fmac_f32_e32 v39, v40, v38
	v_fma_f32 v36, -v36, v39, v37
	v_div_fmas_f32 v36, v36, v38, v39
	v_div_fixup_f32 v33, v36, v33, v34
	v_sub_f32_e32 v33, v35, v33
	v_cmp_le_f32_e32 vcc, v33, v26
	v_cmp_gt_f32_e64 s[22:23], v33, -v26
	v_addc_co_u32_e64 v13, s[2:3], 0, v13, vcc
	s_and_b64 s[2:3], vcc, s[22:23]
	s_cmp_lg_u32 s20, 0
	v_cndmask_b32_e64 v33, v33, -v26, s[2:3]
	s_cbranch_scc1 .LBB4_45
.LBB4_46:                               ;   in Loop: Header=BB4_38 Depth=1
	v_cmp_le_i32_e32 vcc, s39, v13
	v_cmp_ge_i32_e64 s[2:3], s33, v13
	s_and_b64 s[20:21], vcc, s[2:3]
	s_and_saveexec_b64 s[2:3], s[20:21]
	s_cbranch_execz .LBB4_36
; %bb.47:                               ;   in Loop: Header=BB4_38 Depth=1
	v_mov_b32_e32 v13, s15
	v_add_co_u32_e32 v20, vcc, s14, v25
	v_addc_co_u32_e32 v21, vcc, v27, v13, vcc
	global_load_dword v32, v[20:21], off
	v_ashrrev_i32_e32 v13, 31, v12
	v_lshlrev_b64 v[20:21], 2, v[12:13]
	v_add_co_u32_e32 v22, vcc, v0, v20
	v_addc_co_u32_e32 v23, vcc, v1, v21, vcc
	v_add_co_u32_e32 v20, vcc, v2, v20
	v_add_u32_e32 v12, 1, v12
	v_addc_co_u32_e32 v21, vcc, v3, v21, vcc
	global_store_dword v[22:23], v31, off
	s_waitcnt vmcnt(1)
	global_store_dword v[20:21], v32, off
	s_branch .LBB4_36
.LBB4_48:
	s_or_b64 exec, exec, s[4:5]
.LBB4_49:
	s_or_b64 exec, exec, s[6:7]
.LBB4_50:
	v_mov_b32_e32 v8, s9
	v_add_co_u32_e32 v4, vcc, s8, v4
	v_addc_co_u32_e32 v5, vcc, v8, v5, vcc
	s_cmpk_eq_i32 s37, 0xf2
	s_cselect_b64 s[0:1], -1, 0
	v_cmp_lt_i32_e32 vcc, 1, v12
	s_mov_b32 s2, 1
	s_and_b64 s[0:1], s[0:1], vcc
	global_store_dword v[4:5], v12, off
	s_and_b64 exec, exec, s[0:1]
	s_cbranch_execz .LBB4_58
; %bb.51:
	v_add_co_u32_e32 v13, vcc, -4, v0
	v_addc_co_u32_e32 v14, vcc, -1, v1, vcc
	v_add_co_u32_e32 v15, vcc, -4, v2
	v_addc_co_u32_e32 v16, vcc, -1, v3, vcc
	v_mov_b32_e32 v4, s13
	v_add_co_u32_e32 v5, vcc, s12, v6
	s_cmp_lg_u64 s[16:17], 0
	v_addc_co_u32_e32 v6, vcc, v7, v4, vcc
	v_add_co_u32_e32 v4, vcc, 4, v5
	s_cselect_b64 s[0:1], -1, 0
	v_addc_co_u32_e32 v5, vcc, 0, v6, vcc
	v_cndmask_b32_e64 v6, 0, 1, s[0:1]
	s_mov_b64 s[4:5], 0
	v_cmp_ne_u32_e64 s[0:1], 1, v6
	s_branch .LBB4_53
.LBB4_52:                               ;   in Loop: Header=BB4_53 Depth=1
	s_or_b64 exec, exec, s[8:9]
	s_add_i32 s2, s2, 1
	v_cmp_eq_u32_e32 vcc, s2, v12
	s_or_b64 s[4:5], vcc, s[4:5]
	v_add_co_u32_e32 v4, vcc, 4, v4
	v_addc_co_u32_e32 v5, vcc, 0, v5, vcc
	s_andn2_b64 exec, exec, s[4:5]
	s_cbranch_execz .LBB4_58
.LBB4_53:                               ; =>This Loop Header: Depth=1
                                        ;     Child Loop BB4_54 Depth 2
	s_ashr_i32 s3, s2, 31
	s_lshl_b64 s[6:7], s[2:3], 2
	v_mov_b32_e32 v7, s7
	v_add_co_u32_e32 v6, vcc, s6, v13
	v_addc_co_u32_e32 v7, vcc, v14, v7, vcc
	global_load_dword v17, v[6:7], off
	s_add_i32 s3, s2, -1
	v_mov_b32_e32 v8, s3
	s_mov_b64 s[8:9], 0
	v_pk_mov_b32 v[10:11], v[4:5], v[4:5] op_sel:[0,1]
	s_mov_b32 s10, s2
	s_waitcnt vmcnt(0)
	v_mov_b32_e32 v18, v17
.LBB4_54:                               ;   Parent Loop BB4_53 Depth=1
                                        ; =>  This Inner Loop Header: Depth=2
	global_load_dword v9, v[10:11], off
	v_add_co_u32_e32 v10, vcc, 4, v10
	v_mov_b32_e32 v19, s10
	s_add_i32 s10, s10, 1
	v_addc_co_u32_e32 v11, vcc, 0, v11, vcc
	v_cmp_ge_i32_e32 vcc, s10, v12
	s_or_b64 s[8:9], vcc, s[8:9]
	s_waitcnt vmcnt(0)
	v_cmp_lt_f32_e32 vcc, v9, v18
	v_cndmask_b32_e32 v18, v18, v9, vcc
	v_cndmask_b32_e32 v8, v8, v19, vcc
	s_andn2_b64 exec, exec, s[8:9]
	s_cbranch_execnz .LBB4_54
; %bb.55:                               ;   in Loop: Header=BB4_53 Depth=1
	s_or_b64 exec, exec, s[8:9]
	v_cmp_ne_u32_e32 vcc, s3, v8
	s_and_saveexec_b64 s[8:9], vcc
	s_cbranch_execz .LBB4_52
; %bb.56:                               ;   in Loop: Header=BB4_53 Depth=1
	v_ashrrev_i32_e32 v9, 31, v8
	v_lshlrev_b64 v[8:9], 2, v[8:9]
	v_add_co_u32_e32 v10, vcc, v0, v8
	v_addc_co_u32_e32 v11, vcc, v1, v9, vcc
	s_and_b64 vcc, exec, s[0:1]
	global_store_dword v[10:11], v17, off
	global_store_dword v[6:7], v18, off
	s_cbranch_vccnz .LBB4_52
; %bb.57:                               ;   in Loop: Header=BB4_53 Depth=1
	v_mov_b32_e32 v7, s7
	v_add_co_u32_e32 v6, vcc, s6, v15
	v_addc_co_u32_e32 v7, vcc, v16, v7, vcc
	v_add_co_u32_e32 v8, vcc, v2, v8
	v_addc_co_u32_e32 v9, vcc, v3, v9, vcc
	global_load_dword v10, v[6:7], off
	global_load_dword v11, v[8:9], off
	s_waitcnt vmcnt(1)
	global_store_dword v[8:9], v10, off
	s_waitcnt vmcnt(1)
	global_store_dword v[6:7], v11, off
	s_branch .LBB4_52
.LBB4_58:
	s_endpgm
	.section	.rodata,"a",@progbits
	.p2align	6, 0x0
	.amdhsa_kernel _ZN9rocsolver6v33100L22stebz_synthesis_kernelIfPfEEv15rocblas_erange_15rocblas_eorder_iiiT0_iiPiS6_PT_lS6_lS6_liS6_S8_S8_S8_S8_S6_S7_
		.amdhsa_group_segment_fixed_size 0
		.amdhsa_private_segment_fixed_size 0
		.amdhsa_kernarg_size 424
		.amdhsa_user_sgpr_count 6
		.amdhsa_user_sgpr_private_segment_buffer 1
		.amdhsa_user_sgpr_dispatch_ptr 0
		.amdhsa_user_sgpr_queue_ptr 0
		.amdhsa_user_sgpr_kernarg_segment_ptr 1
		.amdhsa_user_sgpr_dispatch_id 0
		.amdhsa_user_sgpr_flat_scratch_init 0
		.amdhsa_user_sgpr_kernarg_preload_length 0
		.amdhsa_user_sgpr_kernarg_preload_offset 0
		.amdhsa_user_sgpr_private_segment_size 0
		.amdhsa_uses_dynamic_stack 0
		.amdhsa_system_sgpr_private_segment_wavefront_offset 0
		.amdhsa_system_sgpr_workgroup_id_x 1
		.amdhsa_system_sgpr_workgroup_id_y 0
		.amdhsa_system_sgpr_workgroup_id_z 0
		.amdhsa_system_sgpr_workgroup_info 0
		.amdhsa_system_vgpr_workitem_id 0
		.amdhsa_next_free_vgpr 42
		.amdhsa_next_free_sgpr 40
		.amdhsa_accum_offset 44
		.amdhsa_reserve_vcc 1
		.amdhsa_reserve_flat_scratch 0
		.amdhsa_float_round_mode_32 0
		.amdhsa_float_round_mode_16_64 0
		.amdhsa_float_denorm_mode_32 3
		.amdhsa_float_denorm_mode_16_64 3
		.amdhsa_dx10_clamp 1
		.amdhsa_ieee_mode 1
		.amdhsa_fp16_overflow 0
		.amdhsa_tg_split 0
		.amdhsa_exception_fp_ieee_invalid_op 0
		.amdhsa_exception_fp_denorm_src 0
		.amdhsa_exception_fp_ieee_div_zero 0
		.amdhsa_exception_fp_ieee_overflow 0
		.amdhsa_exception_fp_ieee_underflow 0
		.amdhsa_exception_fp_ieee_inexact 0
		.amdhsa_exception_int_div_zero 0
	.end_amdhsa_kernel
	.section	.text._ZN9rocsolver6v33100L22stebz_synthesis_kernelIfPfEEv15rocblas_erange_15rocblas_eorder_iiiT0_iiPiS6_PT_lS6_lS6_liS6_S8_S8_S8_S8_S6_S7_,"axG",@progbits,_ZN9rocsolver6v33100L22stebz_synthesis_kernelIfPfEEv15rocblas_erange_15rocblas_eorder_iiiT0_iiPiS6_PT_lS6_lS6_liS6_S8_S8_S8_S8_S6_S7_,comdat
.Lfunc_end4:
	.size	_ZN9rocsolver6v33100L22stebz_synthesis_kernelIfPfEEv15rocblas_erange_15rocblas_eorder_iiiT0_iiPiS6_PT_lS6_lS6_liS6_S8_S8_S8_S8_S6_S7_, .Lfunc_end4-_ZN9rocsolver6v33100L22stebz_synthesis_kernelIfPfEEv15rocblas_erange_15rocblas_eorder_iiiT0_iiPiS6_PT_lS6_lS6_liS6_S8_S8_S8_S8_S6_S7_
                                        ; -- End function
	.section	.AMDGPU.csdata,"",@progbits
; Kernel info:
; codeLenInByte = 2792
; NumSgprs: 44
; NumVgprs: 42
; NumAgprs: 0
; TotalNumVgprs: 42
; ScratchSize: 0
; MemoryBound: 0
; FloatMode: 240
; IeeeMode: 1
; LDSByteSize: 0 bytes/workgroup (compile time only)
; SGPRBlocks: 5
; VGPRBlocks: 5
; NumSGPRsForWavesPerEU: 44
; NumVGPRsForWavesPerEU: 42
; AccumOffset: 44
; Occupancy: 8
; WaveLimiterHint : 1
; COMPUTE_PGM_RSRC2:SCRATCH_EN: 0
; COMPUTE_PGM_RSRC2:USER_SGPR: 6
; COMPUTE_PGM_RSRC2:TRAP_HANDLER: 0
; COMPUTE_PGM_RSRC2:TGID_X_EN: 1
; COMPUTE_PGM_RSRC2:TGID_Y_EN: 0
; COMPUTE_PGM_RSRC2:TGID_Z_EN: 0
; COMPUTE_PGM_RSRC2:TIDIG_COMP_CNT: 0
; COMPUTE_PGM_RSRC3_GFX90A:ACCUM_OFFSET: 10
; COMPUTE_PGM_RSRC3_GFX90A:TG_SPLIT: 0
	.section	.text._ZN9rocsolver6v33100L18stebz_case1_kernelIdPdEEv15rocblas_erange_T_S4_T0_ilPiS6_PS4_lS6_lS6_li,"axG",@progbits,_ZN9rocsolver6v33100L18stebz_case1_kernelIdPdEEv15rocblas_erange_T_S4_T0_ilPiS6_PS4_lS6_lS6_li,comdat
	.globl	_ZN9rocsolver6v33100L18stebz_case1_kernelIdPdEEv15rocblas_erange_T_S4_T0_ilPiS6_PS4_lS6_lS6_li ; -- Begin function _ZN9rocsolver6v33100L18stebz_case1_kernelIdPdEEv15rocblas_erange_T_S4_T0_ilPiS6_PS4_lS6_lS6_li
	.p2align	8
	.type	_ZN9rocsolver6v33100L18stebz_case1_kernelIdPdEEv15rocblas_erange_T_S4_T0_ilPiS6_PS4_lS6_lS6_li,@function
_ZN9rocsolver6v33100L18stebz_case1_kernelIdPdEEv15rocblas_erange_T_S4_T0_ilPiS6_PS4_lS6_lS6_li: ; @_ZN9rocsolver6v33100L18stebz_case1_kernelIdPdEEv15rocblas_erange_T_S4_T0_ilPiS6_PS4_lS6_lS6_li
; %bb.0:
	s_load_dword s0, s[4:5], 0x84
	s_load_dword s1, s[4:5], 0x70
	s_waitcnt lgkmcnt(0)
	s_and_b32 s0, s0, 0xffff
	s_mul_i32 s6, s6, s0
	v_add_u32_e32 v0, s6, v0
	v_cmp_gt_i32_e32 vcc, s1, v0
	s_and_saveexec_b64 s[0:1], vcc
	s_cbranch_execz .LBB5_7
; %bb.1:
	s_load_dword s0, s[4:5], 0x20
	s_load_dwordx16 s[8:23], s[4:5], 0x28
	s_load_dwordx2 s[2:3], s[4:5], 0x18
	v_ashrrev_i32_e32 v1, 31, v0
	v_mov_b32_e32 v10, 1
	s_waitcnt lgkmcnt(0)
	s_ashr_i32 s1, s0, 31
	v_mul_lo_u32 v4, v0, s9
	v_mul_lo_u32 v5, v1, s8
	v_mad_u64_u32 v[2:3], s[6:7], v0, s8, 0
	s_lshl_b64 s[0:1], s[0:1], 3
	v_add3_u32 v3, v3, v4, v5
	s_add_u32 s0, s0, s2
	v_lshlrev_b64 v[2:3], 3, v[2:3]
	s_addc_u32 s1, s1, s3
	v_mov_b32_e32 v4, s1
	v_add_co_u32_e32 v2, vcc, s0, v2
	v_addc_co_u32_e32 v3, vcc, v4, v3, vcc
	global_load_dwordx2 v[4:5], v[2:3], off
	s_load_dwordx2 s[0:1], s[4:5], 0x68
	s_load_dword s2, s[4:5], 0x0
	v_mov_b32_e32 v9, s13
	s_waitcnt lgkmcnt(0)
	v_mul_lo_u32 v6, v0, s1
	v_mul_lo_u32 v7, v1, s0
	v_mad_u64_u32 v[2:3], s[0:1], v0, s0, 0
	v_add3_u32 v3, v3, v6, v7
	v_lshlrev_b64 v[2:3], 2, v[2:3]
	v_mov_b32_e32 v7, s23
	v_add_co_u32_e32 v6, vcc, s22, v2
	v_addc_co_u32_e32 v7, vcc, v7, v3, vcc
	v_lshlrev_b64 v[2:3], 2, v[0:1]
	v_add_co_u32_e32 v8, vcc, s12, v2
	s_cmpk_lg_i32 s2, 0xe8
	v_addc_co_u32_e32 v9, vcc, v9, v3, vcc
	s_cselect_b64 s[6:7], -1, 0
	s_and_b64 vcc, exec, s[6:7]
	global_store_dword v[8:9], v10, off
	global_store_dword v[6:7], v10, off
	s_cbranch_vccnz .LBB5_3
; %bb.2:
	s_load_dwordx4 s[24:27], s[4:5], 0x8
	s_andn2_b64 s[4:5], s[6:7], exec
	s_mov_b64 s[2:3], -1
	s_waitcnt vmcnt(2) lgkmcnt(0)
	v_cmp_nge_f64_e32 vcc, s[24:25], v[4:5]
	v_cmp_nlt_f64_e64 s[0:1], s[26:27], v[4:5]
	s_and_b64 s[0:1], vcc, s[0:1]
	s_and_b64 s[0:1], s[0:1], exec
	s_or_b64 s[6:7], s[4:5], s[0:1]
	s_and_saveexec_b64 s[0:1], s[6:7]
	s_xor_b64 s[0:1], exec, s[0:1]
	s_cbranch_execnz .LBB5_4
	s_branch .LBB5_5
.LBB5_3:
	s_mov_b64 s[2:3], 0
	s_and_saveexec_b64 s[0:1], s[6:7]
	s_xor_b64 s[0:1], exec, s[0:1]
	s_cbranch_execz .LBB5_5
.LBB5_4:
	v_mul_lo_u32 v8, v1, s16
	v_mul_lo_u32 v9, v0, s17
	v_mad_u64_u32 v[6:7], s[4:5], v0, s16, 0
	v_add3_u32 v7, v7, v9, v8
	v_lshlrev_b64 v[6:7], 3, v[6:7]
	v_mov_b32_e32 v8, s15
	v_add_co_u32_e32 v6, vcc, s14, v6
	v_addc_co_u32_e32 v7, vcc, v8, v7, vcc
	v_mul_lo_u32 v8, v1, s20
	v_mul_lo_u32 v9, v0, s21
	v_mad_u64_u32 v[0:1], s[4:5], v0, s20, 0
	v_add3_u32 v1, v1, v9, v8
	v_lshlrev_b64 v[0:1], 2, v[0:1]
	v_mov_b32_e32 v8, s19
	v_add_co_u32_e32 v0, vcc, s18, v0
	v_addc_co_u32_e32 v1, vcc, v8, v1, vcc
	v_mov_b32_e32 v9, s11
	v_add_co_u32_e32 v8, vcc, s10, v2
	v_addc_co_u32_e32 v9, vcc, v9, v3, vcc
	v_mov_b32_e32 v10, 1
	global_store_dword v[8:9], v10, off
	s_waitcnt vmcnt(3)
	global_store_dwordx2 v[6:7], v[4:5], off
	global_store_dword v[0:1], v10, off
	s_andn2_b64 s[2:3], s[2:3], exec
.LBB5_5:
	s_or_b64 exec, exec, s[0:1]
	s_and_b64 exec, exec, s[2:3]
	s_cbranch_execz .LBB5_7
; %bb.6:
	v_mov_b32_e32 v1, s11
	v_add_co_u32_e32 v0, vcc, s10, v2
	v_addc_co_u32_e32 v1, vcc, v1, v3, vcc
	v_mov_b32_e32 v2, 0
	global_store_dword v[0:1], v2, off
.LBB5_7:
	s_endpgm
	.section	.rodata,"a",@progbits
	.p2align	6, 0x0
	.amdhsa_kernel _ZN9rocsolver6v33100L18stebz_case1_kernelIdPdEEv15rocblas_erange_T_S4_T0_ilPiS6_PS4_lS6_lS6_li
		.amdhsa_group_segment_fixed_size 0
		.amdhsa_private_segment_fixed_size 0
		.amdhsa_kernarg_size 376
		.amdhsa_user_sgpr_count 6
		.amdhsa_user_sgpr_private_segment_buffer 1
		.amdhsa_user_sgpr_dispatch_ptr 0
		.amdhsa_user_sgpr_queue_ptr 0
		.amdhsa_user_sgpr_kernarg_segment_ptr 1
		.amdhsa_user_sgpr_dispatch_id 0
		.amdhsa_user_sgpr_flat_scratch_init 0
		.amdhsa_user_sgpr_kernarg_preload_length 0
		.amdhsa_user_sgpr_kernarg_preload_offset 0
		.amdhsa_user_sgpr_private_segment_size 0
		.amdhsa_uses_dynamic_stack 0
		.amdhsa_system_sgpr_private_segment_wavefront_offset 0
		.amdhsa_system_sgpr_workgroup_id_x 1
		.amdhsa_system_sgpr_workgroup_id_y 0
		.amdhsa_system_sgpr_workgroup_id_z 0
		.amdhsa_system_sgpr_workgroup_info 0
		.amdhsa_system_vgpr_workitem_id 0
		.amdhsa_next_free_vgpr 11
		.amdhsa_next_free_sgpr 28
		.amdhsa_accum_offset 12
		.amdhsa_reserve_vcc 1
		.amdhsa_reserve_flat_scratch 0
		.amdhsa_float_round_mode_32 0
		.amdhsa_float_round_mode_16_64 0
		.amdhsa_float_denorm_mode_32 3
		.amdhsa_float_denorm_mode_16_64 3
		.amdhsa_dx10_clamp 1
		.amdhsa_ieee_mode 1
		.amdhsa_fp16_overflow 0
		.amdhsa_tg_split 0
		.amdhsa_exception_fp_ieee_invalid_op 0
		.amdhsa_exception_fp_denorm_src 0
		.amdhsa_exception_fp_ieee_div_zero 0
		.amdhsa_exception_fp_ieee_overflow 0
		.amdhsa_exception_fp_ieee_underflow 0
		.amdhsa_exception_fp_ieee_inexact 0
		.amdhsa_exception_int_div_zero 0
	.end_amdhsa_kernel
	.section	.text._ZN9rocsolver6v33100L18stebz_case1_kernelIdPdEEv15rocblas_erange_T_S4_T0_ilPiS6_PS4_lS6_lS6_li,"axG",@progbits,_ZN9rocsolver6v33100L18stebz_case1_kernelIdPdEEv15rocblas_erange_T_S4_T0_ilPiS6_PS4_lS6_lS6_li,comdat
.Lfunc_end5:
	.size	_ZN9rocsolver6v33100L18stebz_case1_kernelIdPdEEv15rocblas_erange_T_S4_T0_ilPiS6_PS4_lS6_lS6_li, .Lfunc_end5-_ZN9rocsolver6v33100L18stebz_case1_kernelIdPdEEv15rocblas_erange_T_S4_T0_ilPiS6_PS4_lS6_lS6_li
                                        ; -- End function
	.section	.AMDGPU.csdata,"",@progbits
; Kernel info:
; codeLenInByte = 552
; NumSgprs: 32
; NumVgprs: 11
; NumAgprs: 0
; TotalNumVgprs: 11
; ScratchSize: 0
; MemoryBound: 0
; FloatMode: 240
; IeeeMode: 1
; LDSByteSize: 0 bytes/workgroup (compile time only)
; SGPRBlocks: 3
; VGPRBlocks: 1
; NumSGPRsForWavesPerEU: 32
; NumVGPRsForWavesPerEU: 11
; AccumOffset: 12
; Occupancy: 8
; WaveLimiterHint : 0
; COMPUTE_PGM_RSRC2:SCRATCH_EN: 0
; COMPUTE_PGM_RSRC2:USER_SGPR: 6
; COMPUTE_PGM_RSRC2:TRAP_HANDLER: 0
; COMPUTE_PGM_RSRC2:TGID_X_EN: 1
; COMPUTE_PGM_RSRC2:TGID_Y_EN: 0
; COMPUTE_PGM_RSRC2:TGID_Z_EN: 0
; COMPUTE_PGM_RSRC2:TIDIG_COMP_CNT: 0
; COMPUTE_PGM_RSRC3_GFX90A:ACCUM_OFFSET: 2
; COMPUTE_PGM_RSRC3_GFX90A:TG_SPLIT: 0
	.section	.text._ZN9rocsolver6v33100L22stebz_splitting_kernelIdPdEEv15rocblas_erange_iT_S4_iiT0_iiS5_iiPiPS4_lS6_lS6_S7_S7_S7_S7_S6_S4_S4_,"axG",@progbits,_ZN9rocsolver6v33100L22stebz_splitting_kernelIdPdEEv15rocblas_erange_iT_S4_iiT0_iiS5_iiPiPS4_lS6_lS6_S7_S7_S7_S7_S6_S4_S4_,comdat
	.globl	_ZN9rocsolver6v33100L22stebz_splitting_kernelIdPdEEv15rocblas_erange_iT_S4_iiT0_iiS5_iiPiPS4_lS6_lS6_S7_S7_S7_S7_S6_S4_S4_ ; -- Begin function _ZN9rocsolver6v33100L22stebz_splitting_kernelIdPdEEv15rocblas_erange_iT_S4_iiT0_iiS5_iiPiPS4_lS6_lS6_S7_S7_S7_S7_S6_S4_S4_
	.p2align	8
	.type	_ZN9rocsolver6v33100L22stebz_splitting_kernelIdPdEEv15rocblas_erange_iT_S4_iiT0_iiS5_iiPiPS4_lS6_lS6_S7_S7_S7_S7_S6_S4_S4_,@function
_ZN9rocsolver6v33100L22stebz_splitting_kernelIdPdEEv15rocblas_erange_iT_S4_iiT0_iiS5_iiPiPS4_lS6_lS6_S7_S7_S7_S7_S6_S4_S4_: ; @_ZN9rocsolver6v33100L22stebz_splitting_kernelIdPdEEv15rocblas_erange_iT_S4_iiT0_iiS5_iiPiPS4_lS6_lS6_S7_S7_S7_S7_S6_S4_S4_
; %bb.0:
	s_load_dwordx2 s[34:35], s[4:5], 0x0
	s_mov_b32 s40, s7
	v_mov_b32_e32 v2, 0
	v_mov_b32_e32 v6, 0
	s_waitcnt lgkmcnt(0)
	s_add_i32 s33, s35, -1
	s_ashr_i32 s0, s33, 31
	s_lshr_b32 s0, s0, 24
	s_add_i32 s0, s33, s0
	s_ashr_i32 s1, s0, 8
	s_and_b32 s0, s0, 0xffffff00
	s_sub_i32 s0, s33, s0
	v_mov_b32_e32 v1, s1
	v_cmp_gt_i32_e32 vcc, s0, v0
	v_addc_co_u32_e32 v22, vcc, 0, v1, vcc
	v_lshlrev_b32_e32 v1, 2, v0
	v_cmp_eq_u32_e64 s[0:1], 0, v0
	v_cmp_ne_u32_e32 vcc, 0, v0
	ds_write_b32 v1, v22 offset:2048
	s_waitcnt lgkmcnt(0)
	s_barrier
	s_and_saveexec_b64 s[6:7], vcc
	s_cbranch_execz .LBB6_16
; %bb.1:
	v_cmp_lt_u32_e64 s[2:3], 3, v0
	s_mov_b64 s[10:11], -1
	s_mov_b32 s12, 0
	v_mov_b32_e32 v6, 0
	v_mov_b32_e32 v3, 0
	s_and_saveexec_b64 s[8:9], s[2:3]
	s_cbranch_execz .LBB6_11
; %bb.2:
	v_add_u32_e32 v4, -4, v0
	v_lshrrev_b32_e32 v3, 2, v4
	s_mov_b32 s13, s12
	v_add_u32_e32 v3, 1, v3
	v_cmp_lt_u32_e64 s[2:3], 27, v4
	v_pk_mov_b32 v[6:7], s[12:13], s[12:13] op_sel:[0,1]
	v_mov_b32_e32 v9, 0
	v_pk_mov_b32 v[4:5], s[12:13], s[12:13] op_sel:[0,1]
	s_and_saveexec_b64 s[10:11], s[2:3]
	s_cbranch_execz .LBB6_6
; %bb.3:
	v_and_b32_e32 v8, 0x7ffffff8, v3
	s_mov_b32 s14, 0
	s_movk_i32 s15, 0x800
	s_mov_b64 s[12:13], 0
	v_mov_b32_e32 v4, 0
	v_mov_b32_e32 v5, 0
	v_mov_b32_e32 v6, 0
	v_mov_b32_e32 v7, 0
.LBB6_4:                                ; =>This Inner Loop Header: Depth=1
	v_mov_b32_e32 v9, s15
	ds_read_b128 v[10:13], v9
	ds_read_b128 v[14:17], v9 offset:16
	ds_read_b128 v[18:21], v9 offset:32
	;; [unrolled: 1-line block ×7, first 2 shown]
	s_waitcnt lgkmcnt(7)
	v_add_u32_e32 v4, v10, v4
	v_add_u32_e32 v5, v11, v5
	v_add_u32_e32 v6, v12, v6
	v_add_u32_e32 v7, v13, v7
	s_waitcnt lgkmcnt(6)
	v_add_u32_e32 v5, v15, v5
	v_add_u32_e32 v4, v14, v4
	v_add_u32_e32 v7, v17, v7
	v_add_u32_e32 v6, v16, v6
	;; [unrolled: 5-line block ×5, first 2 shown]
	v_add_u32_e32 v8, -8, v8
	s_waitcnt lgkmcnt(2)
	v_add_u32_e32 v5, v33, v5
	v_add_u32_e32 v4, v32, v4
	;; [unrolled: 1-line block ×4, first 2 shown]
	s_add_i32 s14, s14, 32
	s_addk_i32 s15, 0x80
	v_cmp_eq_u32_e64 s[2:3], 0, v8
	s_waitcnt lgkmcnt(1)
	v_add_u32_e32 v4, v36, v4
	v_add_u32_e32 v5, v37, v5
	;; [unrolled: 1-line block ×4, first 2 shown]
	v_mov_b32_e32 v9, s14
	s_or_b64 s[12:13], s[2:3], s[12:13]
	s_waitcnt lgkmcnt(0)
	v_add_u32_e32 v5, v41, v5
	v_add_u32_e32 v4, v40, v4
	;; [unrolled: 1-line block ×4, first 2 shown]
	s_andn2_b64 exec, exec, s[12:13]
	s_cbranch_execnz .LBB6_4
; %bb.5:
	s_or_b64 exec, exec, s[12:13]
.LBB6_6:
	s_or_b64 exec, exec, s[10:11]
	v_and_b32_e32 v3, 7, v3
	v_cmp_ne_u32_e64 s[2:3], 0, v3
	s_and_saveexec_b64 s[10:11], s[2:3]
	s_cbranch_execz .LBB6_10
; %bb.7:
	v_mov_b32_e32 v8, 0x800
	v_lshl_add_u32 v8, v9, 2, v8
	s_mov_b64 s[12:13], 0
.LBB6_8:                                ; =>This Inner Loop Header: Depth=1
	ds_read_b128 v[10:13], v8
	v_add_u32_e32 v3, -1, v3
	v_cmp_eq_u32_e64 s[2:3], 0, v3
	v_add_u32_e32 v8, 16, v8
	s_or_b64 s[12:13], s[2:3], s[12:13]
	s_waitcnt lgkmcnt(0)
	v_add_u32_e32 v5, v11, v5
	v_add_u32_e32 v4, v10, v4
	;; [unrolled: 1-line block ×4, first 2 shown]
	s_andn2_b64 exec, exec, s[12:13]
	s_cbranch_execnz .LBB6_8
; %bb.9:
	s_or_b64 exec, exec, s[12:13]
.LBB6_10:
	s_or_b64 exec, exec, s[10:11]
	v_and_b32_e32 v3, 0xfc, v0
	v_add_u32_e32 v5, v7, v5
	v_cmp_ne_u32_e64 s[2:3], v0, v3
	v_add3_u32 v6, v6, v4, v5
	s_orn2_b64 s[10:11], s[2:3], exec
.LBB6_11:
	s_or_b64 exec, exec, s[8:9]
	s_and_saveexec_b64 s[8:9], s[10:11]
	s_cbranch_execz .LBB6_15
; %bb.12:
	v_mov_b32_e32 v5, 0x800
	v_sub_u32_e32 v4, v0, v3
	v_lshl_or_b32 v3, v3, 2, v5
	s_mov_b64 s[10:11], 0
.LBB6_13:                               ; =>This Inner Loop Header: Depth=1
	ds_read_b32 v5, v3
	v_add_u32_e32 v4, -1, v4
	v_cmp_eq_u32_e64 s[2:3], 0, v4
	v_add_u32_e32 v3, 4, v3
	s_or_b64 s[10:11], s[2:3], s[10:11]
	s_waitcnt lgkmcnt(0)
	v_add_u32_e32 v6, v5, v6
	s_andn2_b64 exec, exec, s[10:11]
	s_cbranch_execnz .LBB6_13
; %bb.14:
	s_or_b64 exec, exec, s[10:11]
.LBB6_15:
	s_or_b64 exec, exec, s[8:9]
.LBB6_16:
	s_or_b64 exec, exec, s[6:7]
	s_load_dwordx4 s[36:39], s[4:5], 0x20
	s_load_dwordx16 s[8:23], s[4:5], 0x40
	s_load_dwordx2 s[46:47], s[4:5], 0xa0
	s_load_dwordx8 s[24:31], s[4:5], 0x80
	s_mul_i32 s2, s40, s35
	s_waitcnt lgkmcnt(0)
	s_ashr_i32 s43, s38, 31
	s_mov_b32 s42, s38
	s_mul_i32 s38, s33, s40
	s_ashr_i32 s3, s2, 31
	s_ashr_i32 s41, s40, 31
	s_mul_hi_i32 s45, s39, s40
	s_mul_i32 s44, s39, s40
	s_ashr_i32 s39, s38, 31
	s_lshl_b64 s[2:3], s[2:3], 2
	s_add_u32 s2, s18, s2
	v_ashrrev_i32_e32 v7, 31, v6
	s_addc_u32 s3, s19, s3
	v_lshlrev_b64 v[4:5], 2, v[6:7]
	s_mul_i32 s6, s40, s13
	s_mul_hi_u32 s7, s40, s12
	v_mov_b32_e32 v3, s3
	v_add_co_u32_e64 v4, s[2:3], s2, v4
	s_add_i32 s6, s7, s6
	s_mul_i32 s7, s41, s12
	v_addc_co_u32_e64 v5, s[2:3], v3, v5, s[2:3]
	s_add_i32 s19, s6, s7
	s_mul_i32 s18, s40, s12
	v_cmp_lt_i32_e64 s[2:3], 0, v22
	s_and_saveexec_b64 s[6:7], s[2:3]
	s_cbranch_execz .LBB6_22
; %bb.17:
	s_load_dwordx4 s[48:51], s[4:5], 0x30
	v_lshlrev_b64 v[2:3], 3, v[6:7]
	v_pk_mov_b32 v[16:17], s[46:47], s[46:47] op_sel:[0,1]
	s_waitcnt lgkmcnt(0)
	s_ashr_i32 s3, s50, 31
	s_mov_b32 s2, s50
	s_mul_hi_i32 s13, s40, s51
	s_mul_i32 s12, s40, s51
	s_lshl_b64 s[12:13], s[12:13], 3
	s_lshl_b64 s[2:3], s[2:3], 3
	s_add_u32 s2, s12, s2
	s_addc_u32 s3, s13, s3
	s_add_u32 s2, s48, s2
	s_addc_u32 s3, s49, s3
	v_mov_b32_e32 v7, s3
	v_add_co_u32_e64 v8, s[2:3], s2, v2
	v_addc_co_u32_e64 v9, s[2:3], v7, v3, s[2:3]
	s_lshl_b64 s[2:3], s[44:45], 3
	s_lshl_b64 s[12:13], s[42:43], 3
	s_add_u32 s2, s2, s12
	s_addc_u32 s3, s3, s13
	s_add_u32 s2, s36, s2
	s_addc_u32 s3, s37, s3
	v_mov_b32_e32 v7, s3
	v_add_co_u32_e64 v10, s[2:3], s2, v2
	v_addc_co_u32_e64 v11, s[2:3], v7, v3, s[2:3]
	s_lshl_b64 s[2:3], s[38:39], 3
	s_add_u32 s2, s22, s2
	s_addc_u32 s3, s23, s3
	v_mov_b32_e32 v7, s3
	v_add_co_u32_e64 v12, s[2:3], s2, v2
	v_addc_co_u32_e64 v13, s[2:3], v7, v3, s[2:3]
	s_lshl_b64 s[2:3], s[18:19], 3
	s_add_u32 s2, s10, s2
	s_addc_u32 s3, s11, s3
	v_mov_b32_e32 v7, s3
	v_add_co_u32_e64 v14, s[2:3], s2, v2
	v_addc_co_u32_e64 v15, s[2:3], v7, v3, s[2:3]
	s_mov_b64 s[12:13], 0
	v_mov_b32_e32 v2, 0
	s_branch .LBB6_19
.LBB6_18:                               ;   in Loop: Header=BB6_19 Depth=1
	s_or_b64 exec, exec, s[48:49]
	v_add_co_u32_e64 v8, s[2:3], 8, v8
	v_addc_co_u32_e64 v9, s[2:3], 0, v9, s[2:3]
	v_add_co_u32_e64 v10, s[2:3], 8, v10
	v_addc_co_u32_e64 v11, s[2:3], 0, v11, s[2:3]
	global_store_dwordx2 v[12:13], v[20:21], off
	global_store_dwordx2 v[14:15], v[18:19], off
	v_add_co_u32_e64 v12, s[2:3], 8, v12
	v_add_u32_e32 v22, -1, v22
	v_addc_co_u32_e64 v13, s[2:3], 0, v13, s[2:3]
	v_cmp_eq_u32_e64 s[2:3], 0, v22
	s_or_b64 s[12:13], s[2:3], s[12:13]
	v_add_co_u32_e64 v14, s[2:3], 8, v14
	v_add_u32_e32 v6, 1, v6
	v_addc_co_u32_e64 v15, s[2:3], 0, v15, s[2:3]
	s_andn2_b64 exec, exec, s[12:13]
	s_cbranch_execz .LBB6_21
.LBB6_19:                               ; =>This Inner Loop Header: Depth=1
	global_load_dwordx2 v[18:19], v[8:9], off
	global_load_dwordx4 v[24:27], v[10:11], off
	s_waitcnt vmcnt(1)
	v_mul_f64 v[20:21], v[18:19], v[18:19]
	s_waitcnt vmcnt(0)
	v_mul_f64 v[24:25], v[24:25], v[26:27]
	v_mul_f64 v[24:25], |v[24:25]|, s[30:31]
	v_fma_f64 v[24:25], s[30:31], v[24:25], v[16:17]
	v_cmp_gt_f64_e64 s[2:3], v[24:25], v[20:21]
	s_and_saveexec_b64 s[48:49], s[2:3]
	s_cbranch_execz .LBB6_18
; %bb.20:                               ;   in Loop: Header=BB6_19 Depth=1
	v_ashrrev_i32_e32 v3, 31, v2
	v_add_u32_e32 v7, 1, v2
	v_lshlrev_b64 v[2:3], 2, v[2:3]
	v_add_co_u32_e64 v2, s[2:3], v4, v2
	v_addc_co_u32_e64 v3, s[2:3], v5, v3, s[2:3]
	v_pk_mov_b32 v[20:21], 0, 0
	global_store_dword v[2:3], v6, off
	v_pk_mov_b32 v[18:19], v[20:21], v[20:21] op_sel:[0,1]
	v_mov_b32_e32 v2, v7
	s_branch .LBB6_18
.LBB6_21:
	s_or_b64 exec, exec, s[12:13]
.LBB6_22:
	s_or_b64 exec, exec, s[6:7]
	v_or_b32_e32 v1, 0x800, v1
	v_mov_b32_e32 v6, 0
	ds_write_b32 v1, v2
	s_waitcnt lgkmcnt(0)
	s_barrier
	s_and_saveexec_b64 s[2:3], vcc
	s_cbranch_execz .LBB6_38
; %bb.23:
	v_cmp_lt_u32_e32 vcc, 3, v0
	s_mov_b64 s[12:13], -1
	s_mov_b32 s48, 0
	v_mov_b32_e32 v6, 0
	v_mov_b32_e32 v3, 0
	s_and_saveexec_b64 s[6:7], vcc
	s_cbranch_execz .LBB6_33
; %bb.24:
	v_add_u32_e32 v6, -4, v0
	v_lshrrev_b32_e32 v3, 2, v6
	s_mov_b32 s49, s48
	v_add_u32_e32 v3, 1, v3
	v_cmp_lt_u32_e32 vcc, 27, v6
	v_pk_mov_b32 v[8:9], s[48:49], s[48:49] op_sel:[0,1]
	v_mov_b32_e32 v11, 0
	v_pk_mov_b32 v[6:7], s[48:49], s[48:49] op_sel:[0,1]
	s_and_saveexec_b64 s[12:13], vcc
	s_cbranch_execz .LBB6_28
; %bb.25:
	v_and_b32_e32 v10, 0x7ffffff8, v3
	s_mov_b32 s50, 0
	s_movk_i32 s51, 0x800
	s_mov_b64 s[48:49], 0
	v_mov_b32_e32 v6, 0
	v_mov_b32_e32 v7, 0
	;; [unrolled: 1-line block ×4, first 2 shown]
.LBB6_26:                               ; =>This Inner Loop Header: Depth=1
	v_mov_b32_e32 v11, s51
	ds_read_b128 v[12:15], v11
	ds_read_b128 v[16:19], v11 offset:16
	ds_read_b128 v[20:23], v11 offset:32
	;; [unrolled: 1-line block ×7, first 2 shown]
	s_waitcnt lgkmcnt(7)
	v_add_u32_e32 v6, v12, v6
	v_add_u32_e32 v7, v13, v7
	v_add_u32_e32 v8, v14, v8
	v_add_u32_e32 v9, v15, v9
	s_waitcnt lgkmcnt(6)
	v_add_u32_e32 v7, v17, v7
	v_add_u32_e32 v6, v16, v6
	v_add_u32_e32 v9, v19, v9
	v_add_u32_e32 v8, v18, v8
	s_waitcnt lgkmcnt(5)
	v_add_u32_e32 v6, v20, v6
	v_add_u32_e32 v7, v21, v7
	v_add_u32_e32 v8, v22, v8
	v_add_u32_e32 v9, v23, v9
	s_waitcnt lgkmcnt(4)
	v_add_u32_e32 v7, v25, v7
	v_add_u32_e32 v6, v24, v6
	v_add_u32_e32 v9, v27, v9
	v_add_u32_e32 v8, v26, v8
	s_waitcnt lgkmcnt(3)
	v_add_u32_e32 v6, v28, v6
	v_add_u32_e32 v7, v29, v7
	v_add_u32_e32 v8, v30, v8
	v_add_u32_e32 v9, v31, v9
	v_add_u32_e32 v10, -8, v10
	s_waitcnt lgkmcnt(2)
	v_add_u32_e32 v7, v33, v7
	v_add_u32_e32 v6, v32, v6
	;; [unrolled: 1-line block ×4, first 2 shown]
	s_add_i32 s50, s50, 32
	s_addk_i32 s51, 0x80
	v_cmp_eq_u32_e32 vcc, 0, v10
	s_waitcnt lgkmcnt(1)
	v_add_u32_e32 v6, v36, v6
	v_add_u32_e32 v7, v37, v7
	v_add_u32_e32 v8, v38, v8
	v_add_u32_e32 v9, v39, v9
	v_mov_b32_e32 v11, s50
	s_or_b64 s[48:49], vcc, s[48:49]
	s_waitcnt lgkmcnt(0)
	v_add_u32_e32 v7, v41, v7
	v_add_u32_e32 v6, v40, v6
	;; [unrolled: 1-line block ×4, first 2 shown]
	s_andn2_b64 exec, exec, s[48:49]
	s_cbranch_execnz .LBB6_26
; %bb.27:
	s_or_b64 exec, exec, s[48:49]
.LBB6_28:
	s_or_b64 exec, exec, s[12:13]
	v_and_b32_e32 v3, 7, v3
	v_cmp_ne_u32_e32 vcc, 0, v3
	s_and_saveexec_b64 s[12:13], vcc
	s_cbranch_execz .LBB6_32
; %bb.29:
	v_mov_b32_e32 v10, 0x800
	v_lshl_add_u32 v10, v11, 2, v10
	s_mov_b64 s[48:49], 0
.LBB6_30:                               ; =>This Inner Loop Header: Depth=1
	ds_read_b128 v[12:15], v10
	v_add_u32_e32 v3, -1, v3
	v_cmp_eq_u32_e32 vcc, 0, v3
	v_add_u32_e32 v10, 16, v10
	s_or_b64 s[48:49], vcc, s[48:49]
	s_waitcnt lgkmcnt(0)
	v_add_u32_e32 v7, v13, v7
	v_add_u32_e32 v6, v12, v6
	;; [unrolled: 1-line block ×4, first 2 shown]
	s_andn2_b64 exec, exec, s[48:49]
	s_cbranch_execnz .LBB6_30
; %bb.31:
	s_or_b64 exec, exec, s[48:49]
.LBB6_32:
	s_or_b64 exec, exec, s[12:13]
	v_and_b32_e32 v3, 0xfc, v0
	v_add_u32_e32 v7, v9, v7
	v_cmp_ne_u32_e32 vcc, v0, v3
	v_add3_u32 v6, v8, v6, v7
	s_orn2_b64 s[12:13], vcc, exec
.LBB6_33:
	s_or_b64 exec, exec, s[6:7]
	s_and_saveexec_b64 s[6:7], s[12:13]
	s_cbranch_execz .LBB6_37
; %bb.34:
	v_mov_b32_e32 v8, 0x800
	v_sub_u32_e32 v7, v0, v3
	v_lshl_or_b32 v3, v3, 2, v8
	s_mov_b64 s[12:13], 0
.LBB6_35:                               ; =>This Inner Loop Header: Depth=1
	ds_read_b32 v8, v3
	v_add_u32_e32 v7, -1, v7
	v_cmp_eq_u32_e32 vcc, 0, v7
	v_add_u32_e32 v3, 4, v3
	s_or_b64 s[12:13], vcc, s[12:13]
	s_waitcnt lgkmcnt(0)
	v_add_u32_e32 v6, v8, v6
	s_andn2_b64 exec, exec, s[12:13]
	s_cbranch_execnz .LBB6_35
; %bb.36:
	s_or_b64 exec, exec, s[12:13]
.LBB6_37:
	s_or_b64 exec, exec, s[6:7]
.LBB6_38:
	s_or_b64 exec, exec, s[2:3]
	s_mul_i32 s2, s40, s17
	s_mul_hi_u32 s3, s40, s16
	s_add_i32 s2, s3, s2
	s_mul_i32 s3, s41, s16
	s_add_i32 s7, s2, s3
	s_mul_i32 s6, s40, s16
	v_cmp_lt_i32_e32 vcc, 0, v2
	s_and_saveexec_b64 s[2:3], vcc
	s_cbranch_execz .LBB6_41
; %bb.39:
	s_lshl_b64 s[12:13], s[6:7], 2
	v_ashrrev_i32_e32 v7, 31, v6
	s_add_u32 s12, s14, s12
	v_lshlrev_b64 v[8:9], 2, v[6:7]
	s_addc_u32 s13, s15, s13
	v_mov_b32_e32 v3, s13
	v_add_co_u32_e32 v8, vcc, s12, v8
	v_addc_co_u32_e32 v9, vcc, v3, v9, vcc
	s_mov_b64 s[12:13], 0
	v_mov_b32_e32 v3, v2
.LBB6_40:                               ; =>This Inner Loop Header: Depth=1
	global_load_dword v7, v[4:5], off
	v_add_co_u32_e32 v4, vcc, 4, v4
	v_add_u32_e32 v3, -1, v3
	v_addc_co_u32_e32 v5, vcc, 0, v5, vcc
	v_cmp_eq_u32_e32 vcc, 0, v3
	s_or_b64 s[12:13], vcc, s[12:13]
	s_waitcnt vmcnt(0)
	v_add_u32_e32 v7, 1, v7
	global_store_dword v[8:9], v7, off
	v_add_co_u32_e32 v8, vcc, 4, v8
	v_addc_co_u32_e32 v9, vcc, 0, v9, vcc
	s_andn2_b64 exec, exec, s[12:13]
	s_cbranch_execnz .LBB6_40
.LBB6_41:
	s_or_b64 exec, exec, s[2:3]
	s_movk_i32 s2, 0xff
	v_cmp_eq_u32_e64 s[2:3], s2, v0
	s_and_saveexec_b64 s[12:13], s[2:3]
	s_cbranch_execz .LBB6_43
; %bb.42:
	s_lshl_b64 s[16:17], s[40:41], 2
	s_add_u32 s8, s8, s16
	s_addc_u32 s9, s9, s17
	s_lshl_b64 s[6:7], s[6:7], 2
	v_add_u32_e32 v2, v6, v2
	s_add_u32 s6, s14, s6
	v_ashrrev_i32_e32 v3, 31, v2
	s_addc_u32 s7, s15, s7
	v_lshlrev_b64 v[4:5], 2, v[2:3]
	v_mov_b32_e32 v3, s7
	v_add_co_u32_e32 v4, vcc, s6, v4
	v_addc_co_u32_e32 v5, vcc, v3, v5, vcc
	v_mov_b32_e32 v3, s35
	v_mov_b32_e32 v7, 0
	v_add_u32_e32 v2, 1, v2
	global_store_dword v[4:5], v3, off
	global_store_dword v7, v2, s[8:9]
.LBB6_43:
	s_or_b64 exec, exec, s[12:13]
	v_cmp_gt_i32_e32 vcc, s33, v0
	v_bfrev_b32_e32 v7, -2
	v_pk_mov_b32 v[2:3], 0, 0
	v_lshlrev_b32_e32 v6, 3, v0
	s_barrier
	s_and_saveexec_b64 s[8:9], vcc
	s_cbranch_execz .LBB6_47
; %bb.44:
	s_lshl_b64 s[6:7], s[38:39], 3
	s_add_u32 s6, s22, s6
	s_addc_u32 s7, s23, s7
	v_mov_b32_e32 v2, s7
	v_add_co_u32_e32 v4, vcc, s6, v6
	v_addc_co_u32_e32 v5, vcc, 0, v2, vcc
	s_mov_b64 s[12:13], 0
	v_bfrev_b32_e32 v7, -2
	v_pk_mov_b32 v[2:3], 0, 0
	s_brev_b32 s14, -2
	v_mov_b32_e32 v8, v0
.LBB6_45:                               ; =>This Inner Loop Header: Depth=1
	global_load_dwordx2 v[10:11], v[4:5], off
	v_add_co_u32_e32 v4, vcc, 0x800, v4
	v_cmp_eq_u32_e64 s[6:7], s14, v7
	v_add_u32_e32 v9, 1, v8
	v_add_u32_e32 v8, 0x100, v8
	v_addc_co_u32_e32 v5, vcc, 0, v5, vcc
	v_cmp_le_i32_e32 vcc, s33, v8
	s_waitcnt vmcnt(0)
	v_cmp_lt_f64_e64 s[16:17], v[2:3], |v[10:11]|
	v_and_b32_e32 v12, 0x7fffffff, v11
	s_or_b64 s[6:7], s[16:17], s[6:7]
	v_cndmask_b32_e64 v3, v3, v12, s[6:7]
	v_cndmask_b32_e64 v2, v2, v10, s[6:7]
	s_or_b64 s[12:13], vcc, s[12:13]
	v_cndmask_b32_e64 v7, v7, v9, s[6:7]
	s_andn2_b64 exec, exec, s[12:13]
	s_cbranch_execnz .LBB6_45
; %bb.46:
	s_or_b64 exec, exec, s[12:13]
.LBB6_47:
	s_or_b64 exec, exec, s[8:9]
	s_cmp_lt_i32 s35, 3
	ds_write_b64 v6, v[2:3]
	ds_write_b32 v1, v7
	s_waitcnt lgkmcnt(0)
	s_barrier
	s_cbranch_scc1 .LBB6_82
; %bb.48:
	s_movk_i32 s6, 0x80
	v_cmp_gt_u32_e32 vcc, s6, v0
	s_and_saveexec_b64 s[8:9], vcc
	s_cbranch_execz .LBB6_54
; %bb.49:
	ds_read_b64 v[4:5], v6 offset:1024
	ds_read_b32 v8, v1 offset:512
	s_waitcnt lgkmcnt(1)
	v_cmp_lt_f64_e64 s[12:13], v[2:3], v[4:5]
	v_cmp_nlt_f64_e32 vcc, v[2:3], v[4:5]
	s_and_saveexec_b64 s[14:15], vcc
	s_cbranch_execz .LBB6_51
; %bb.50:
	v_cmp_eq_f64_e32 vcc, v[2:3], v[4:5]
	s_waitcnt lgkmcnt(0)
	v_cmp_gt_i32_e64 s[6:7], v7, v8
	s_and_b64 s[6:7], vcc, s[6:7]
	s_andn2_b64 s[12:13], s[12:13], exec
	s_and_b64 s[6:7], s[6:7], exec
	s_or_b64 s[12:13], s[12:13], s[6:7]
.LBB6_51:
	s_or_b64 exec, exec, s[14:15]
	s_and_saveexec_b64 s[6:7], s[12:13]
	s_cbranch_execz .LBB6_53
; %bb.52:
	s_waitcnt lgkmcnt(0)
	v_mov_b32_e32 v7, v8
	v_pk_mov_b32 v[2:3], v[4:5], v[4:5] op_sel:[0,1]
	ds_write_b64 v6, v[4:5]
	ds_write_b32 v1, v8
.LBB6_53:
	s_or_b64 exec, exec, s[6:7]
.LBB6_54:
	s_or_b64 exec, exec, s[8:9]
	v_cmp_gt_u32_e32 vcc, 64, v0
	s_waitcnt lgkmcnt(0)
	s_barrier
	s_and_saveexec_b64 s[12:13], vcc
	s_cbranch_execz .LBB6_81
; %bb.55:
	ds_read_b64 v[4:5], v6 offset:512
	ds_read_b32 v8, v1 offset:256
	s_waitcnt lgkmcnt(1)
	v_cmp_lt_f64_e64 s[8:9], v[2:3], v[4:5]
	v_cmp_nlt_f64_e32 vcc, v[2:3], v[4:5]
	s_and_saveexec_b64 s[14:15], vcc
	s_cbranch_execz .LBB6_57
; %bb.56:
	v_cmp_eq_f64_e32 vcc, v[2:3], v[4:5]
	s_waitcnt lgkmcnt(0)
	v_cmp_gt_i32_e64 s[6:7], v7, v8
	s_and_b64 s[6:7], vcc, s[6:7]
	s_andn2_b64 s[8:9], s[8:9], exec
	s_and_b64 s[6:7], s[6:7], exec
	s_or_b64 s[8:9], s[8:9], s[6:7]
.LBB6_57:
	s_or_b64 exec, exec, s[14:15]
	s_and_saveexec_b64 s[6:7], s[8:9]
	s_cbranch_execz .LBB6_59
; %bb.58:
	v_pk_mov_b32 v[2:3], v[4:5], v[4:5] op_sel:[0,1]
	s_waitcnt lgkmcnt(0)
	v_mov_b32_e32 v7, v8
	ds_write_b64 v6, v[4:5]
	ds_write_b32 v1, v8
.LBB6_59:
	s_or_b64 exec, exec, s[6:7]
	ds_read_b64 v[4:5], v6 offset:256
	s_waitcnt lgkmcnt(1)
	ds_read_b32 v8, v1 offset:128
	s_waitcnt lgkmcnt(1)
	v_cmp_lt_f64_e64 s[8:9], v[2:3], v[4:5]
	v_cmp_nlt_f64_e32 vcc, v[2:3], v[4:5]
	s_and_saveexec_b64 s[14:15], vcc
	s_cbranch_execz .LBB6_61
; %bb.60:
	v_cmp_eq_f64_e32 vcc, v[2:3], v[4:5]
	s_waitcnt lgkmcnt(0)
	v_cmp_gt_i32_e64 s[6:7], v7, v8
	s_and_b64 s[6:7], vcc, s[6:7]
	s_andn2_b64 s[8:9], s[8:9], exec
	s_and_b64 s[6:7], s[6:7], exec
	s_or_b64 s[8:9], s[8:9], s[6:7]
.LBB6_61:
	s_or_b64 exec, exec, s[14:15]
	s_and_saveexec_b64 s[6:7], s[8:9]
	s_cbranch_execz .LBB6_63
; %bb.62:
	v_pk_mov_b32 v[2:3], v[4:5], v[4:5] op_sel:[0,1]
	s_waitcnt lgkmcnt(0)
	v_mov_b32_e32 v7, v8
	ds_write_b64 v6, v[4:5]
	ds_write_b32 v1, v8
.LBB6_63:
	s_or_b64 exec, exec, s[6:7]
	ds_read_b64 v[4:5], v6 offset:128
	s_waitcnt lgkmcnt(1)
	;; [unrolled: 28-line block ×6, first 2 shown]
	ds_read_b32 v8, v1 offset:4
	s_waitcnt lgkmcnt(1)
	v_cmp_eq_f64_e64 s[6:7], v[2:3], v[4:5]
	s_waitcnt lgkmcnt(0)
	v_cmp_gt_i32_e64 s[8:9], v7, v8
	v_cmp_lt_f64_e32 vcc, v[2:3], v[4:5]
	s_and_b64 s[6:7], s[6:7], s[8:9]
	s_or_b64 s[6:7], vcc, s[6:7]
	s_and_b64 exec, exec, s[6:7]
	s_cbranch_execz .LBB6_81
; %bb.80:
	ds_write_b64 v6, v[4:5]
	ds_write_b32 v1, v8
.LBB6_81:
	s_or_b64 exec, exec, s[12:13]
.LBB6_82:
	v_mov_b32_e32 v1, 0
	s_waitcnt lgkmcnt(0)
	s_barrier
	ds_read_b64 v[2:3], v1
	s_load_dwordx4 s[12:15], s[4:5], 0x8
	v_mov_b32_e32 v1, s47
	s_cmpk_lg_i32 s34, 0xe9
	s_waitcnt lgkmcnt(0)
	v_mul_f64 v[2:3], v[2:3], s[46:47]
	v_cmp_gt_f64_e32 vcc, s[46:47], v[2:3]
	v_cndmask_b32_e32 v7, v3, v1, vcc
	v_mov_b32_e32 v1, s46
	v_cndmask_b32_e32 v6, v2, v1, vcc
	v_pk_mov_b32 v[4:5], s[14:15], s[14:15] op_sel:[0,1]
	v_pk_mov_b32 v[2:3], s[12:13], s[12:13] op_sel:[0,1]
	s_cbranch_scc0 .LBB6_85
; %bb.83:
	s_and_saveexec_b64 s[2:3], s[0:1]
	s_cbranch_execnz .LBB6_136
.LBB6_84:
	s_endpgm
.LBB6_85:
	s_lshl_b64 s[44:45], s[44:45], 3
	s_add_u32 s6, s36, s44
	s_addc_u32 s7, s37, s45
	s_lshl_b64 s[46:47], s[42:43], 3
	s_add_u32 s48, s6, s46
	s_addc_u32 s49, s7, s47
	s_lshl_b64 s[6:7], s[38:39], 3
	s_add_u32 s42, s22, s6
	s_addc_u32 s43, s23, s7
	s_lshl_b64 s[6:7], s[18:19], 3
	s_add_u32 s50, s10, s6
	s_addc_u32 s51, s11, s7
	s_lshl_b32 s16, s35, 1
	s_mul_i32 s6, s16, s40
	s_ashr_i32 s7, s6, 31
	s_lshl_b64 s[38:39], s[6:7], 3
	s_add_u32 s10, s26, s38
	s_addc_u32 s11, s27, s39
	s_lshl_b64 s[18:19], s[6:7], 2
	s_add_u32 s22, s28, s18
	s_addc_u32 s23, s29, s19
	v_pk_mov_b32 v[4:5], s[14:15], s[14:15] op_sel:[0,1]
	v_pk_mov_b32 v[2:3], s[12:13], s[12:13] op_sel:[0,1]
	s_and_saveexec_b64 s[8:9], s[0:1]
	s_cbranch_execz .LBB6_93
; %bb.86:
	v_mov_b32_e32 v1, 0
	global_load_dwordx2 v[4:5], v1, s[50:51]
	global_load_dwordx2 v[10:11], v1, s[48:49]
	s_cmp_gt_i32 s35, 1
	s_cselect_b64 s[12:13], -1, 0
	s_cmp_lt_i32 s35, 2
	s_waitcnt vmcnt(1)
	v_and_b32_e32 v9, 0x7fffffff, v5
	s_waitcnt vmcnt(0)
	v_add_f64 v[2:3], v[10:11], -|v[4:5]|
	v_add_f64 v[12:13], v[10:11], -v[2:3]
	v_cmp_le_f64_e32 vcc, v[12:13], v[6:7]
	v_cndmask_b32_e64 v8, 0, 1, vcc
	s_cbranch_scc1 .LBB6_89
; %bb.87:
	v_cmp_gt_f64_e64 s[6:7], v[12:13], -v[6:7]
	s_and_b64 vcc, vcc, s[6:7]
	s_add_u32 s6, s44, s46
	s_addc_u32 s7, s45, s47
	s_add_u32 s6, s6, s36
	s_addc_u32 s7, s7, s37
	v_xor_b32_e32 v5, 0x80000000, v7
	s_add_u32 s14, s6, 8
	v_cndmask_b32_e32 v13, v13, v5, vcc
	v_cndmask_b32_e32 v12, v12, v6, vcc
	s_addc_u32 s15, s7, 0
	s_mov_b64 s[52:53], s[42:43]
	s_mov_b32 s17, s33
.LBB6_88:                               ; =>This Inner Loop Header: Depth=1
	global_load_dwordx2 v[14:15], v1, s[14:15]
	global_load_dwordx2 v[16:17], v1, s[52:53]
	s_add_i32 s17, s17, -1
	s_waitcnt vmcnt(1)
	v_add_f64 v[14:15], v[14:15], -v[2:3]
	s_waitcnt vmcnt(0)
	v_div_scale_f64 v[18:19], s[6:7], v[12:13], v[12:13], v[16:17]
	v_rcp_f64_e32 v[22:23], v[18:19]
	v_div_scale_f64 v[20:21], vcc, v[16:17], v[12:13], v[16:17]
	v_fma_f64 v[24:25], -v[18:19], v[22:23], 1.0
	v_fmac_f64_e32 v[22:23], v[22:23], v[24:25]
	v_fma_f64 v[24:25], -v[18:19], v[22:23], 1.0
	v_fmac_f64_e32 v[22:23], v[22:23], v[24:25]
	v_mul_f64 v[24:25], v[20:21], v[22:23]
	v_fma_f64 v[18:19], -v[18:19], v[24:25], v[20:21]
	v_div_fmas_f64 v[18:19], v[18:19], v[22:23], v[24:25]
	v_div_fixup_f64 v[12:13], v[18:19], v[12:13], v[16:17]
	v_add_f64 v[12:13], v[14:15], -v[12:13]
	v_cmp_gt_f64_e64 s[54:55], v[12:13], -v[6:7]
	v_cmp_le_f64_e32 vcc, v[12:13], v[6:7]
	v_addc_co_u32_e64 v8, s[6:7], 0, v8, vcc
	s_and_b64 vcc, vcc, s[54:55]
	s_add_u32 s52, s52, 8
	s_addc_u32 s53, s53, 0
	s_add_u32 s14, s14, 8
	s_addc_u32 s15, s15, 0
	v_cndmask_b32_e32 v13, v13, v5, vcc
	s_cmp_lg_u32 s17, 0
	v_cndmask_b32_e32 v12, v12, v6, vcc
	s_cbranch_scc1 .LBB6_88
.LBB6_89:
	v_mov_b32_e32 v5, v9
	v_add_f64 v[4:5], v[10:11], v[4:5]
	v_add_f64 v[10:11], v[10:11], -v[4:5]
	v_cmp_le_f64_e64 s[6:7], v[10:11], v[6:7]
	s_andn2_b64 vcc, exec, s[12:13]
	v_cndmask_b32_e64 v9, 0, 1, s[6:7]
	s_cbranch_vccnz .LBB6_92
; %bb.90:
	v_cmp_gt_f64_e64 s[12:13], v[10:11], -v[6:7]
	s_and_b64 vcc, s[6:7], s[12:13]
	s_add_u32 s6, s44, s46
	s_addc_u32 s7, s45, s47
	s_add_u32 s6, s6, s36
	s_addc_u32 s7, s7, s37
	v_xor_b32_e32 v1, 0x80000000, v7
	s_add_u32 s12, s6, 8
	v_cndmask_b32_e32 v11, v11, v1, vcc
	v_cndmask_b32_e32 v10, v10, v6, vcc
	s_addc_u32 s13, s7, 0
	v_mov_b32_e32 v12, 0
	s_mov_b64 s[14:15], s[42:43]
	s_mov_b32 s17, s33
.LBB6_91:                               ; =>This Inner Loop Header: Depth=1
	global_load_dwordx2 v[14:15], v12, s[12:13]
	global_load_dwordx2 v[16:17], v12, s[14:15]
	s_add_i32 s17, s17, -1
	s_waitcnt vmcnt(1)
	v_add_f64 v[14:15], v[14:15], -v[4:5]
	s_waitcnt vmcnt(0)
	v_div_scale_f64 v[18:19], s[6:7], v[10:11], v[10:11], v[16:17]
	v_rcp_f64_e32 v[22:23], v[18:19]
	v_div_scale_f64 v[20:21], vcc, v[16:17], v[10:11], v[16:17]
	v_fma_f64 v[24:25], -v[18:19], v[22:23], 1.0
	v_fmac_f64_e32 v[22:23], v[22:23], v[24:25]
	v_fma_f64 v[24:25], -v[18:19], v[22:23], 1.0
	v_fmac_f64_e32 v[22:23], v[22:23], v[24:25]
	v_mul_f64 v[24:25], v[20:21], v[22:23]
	v_fma_f64 v[18:19], -v[18:19], v[24:25], v[20:21]
	v_div_fmas_f64 v[18:19], v[18:19], v[22:23], v[24:25]
	v_div_fixup_f64 v[10:11], v[18:19], v[10:11], v[16:17]
	v_add_f64 v[10:11], v[14:15], -v[10:11]
	v_cmp_gt_f64_e64 s[52:53], v[10:11], -v[6:7]
	v_cmp_le_f64_e32 vcc, v[10:11], v[6:7]
	v_addc_co_u32_e64 v9, s[6:7], 0, v9, vcc
	s_and_b64 vcc, vcc, s[52:53]
	s_add_u32 s14, s14, 8
	s_addc_u32 s15, s15, 0
	s_add_u32 s12, s12, 8
	s_addc_u32 s13, s13, 0
	v_cndmask_b32_e32 v11, v11, v1, vcc
	s_cmp_lg_u32 s17, 0
	v_cndmask_b32_e32 v10, v10, v6, vcc
	s_cbranch_scc1 .LBB6_91
.LBB6_92:
	v_mov_b32_e32 v1, 0
	global_store_dwordx4 v1, v[2:5], s[10:11]
	global_store_dwordx2 v1, v[8:9], s[22:23]
.LBB6_93:
	s_or_b64 exec, exec, s[8:9]
	v_add_u32_e32 v0, 1, v0
	v_cmp_gt_i32_e32 vcc, s33, v0
	s_and_saveexec_b64 s[12:13], vcc
	s_cbranch_execz .LBB6_103
; %bb.94:
	s_cmp_gt_i32 s35, 1
	s_cselect_b64 s[6:7], -1, 0
	s_add_u32 s8, s44, s46
	s_addc_u32 s9, s45, s47
	s_add_u32 s8, s8, s36
	s_addc_u32 s9, s9, s37
	s_add_u32 s14, s8, 8
	v_cndmask_b32_e64 v2, 0, 1, s[6:7]
	s_addc_u32 s15, s9, 0
	s_mov_b64 s[52:53], 0
	v_mov_b32_e32 v1, 0
	v_mov_b32_e32 v16, s49
	v_mov_b32_e32 v17, s51
	v_cmp_ne_u32_e64 s[6:7], 1, v2
	v_xor_b32_e32 v18, 0x80000000, v7
	s_branch .LBB6_96
.LBB6_95:                               ;   in Loop: Header=BB6_96 Depth=1
	v_lshlrev_b32_e32 v10, 1, v0
	v_mov_b32_e32 v11, v1
	v_lshlrev_b64 v[12:13], 3, v[10:11]
	v_mov_b32_e32 v14, s11
	v_add_co_u32_e32 v12, vcc, s10, v12
	v_addc_co_u32_e32 v13, vcc, v14, v13, vcc
	v_lshlrev_b64 v[10:11], 2, v[10:11]
	v_mov_b32_e32 v14, s23
	v_add_co_u32_e32 v10, vcc, s22, v10
	v_addc_co_u32_e32 v11, vcc, v14, v11, vcc
	v_add_u32_e32 v0, 0x100, v0
	v_cmp_le_i32_e32 vcc, s33, v0
	s_or_b64 s[52:53], vcc, s[52:53]
	global_store_dwordx4 v[12:13], v[2:5], off
	global_store_dwordx2 v[10:11], v[8:9], off
	s_andn2_b64 exec, exec, s[52:53]
	s_cbranch_execz .LBB6_102
.LBB6_96:                               ; =>This Loop Header: Depth=1
                                        ;     Child Loop BB6_98 Depth 2
                                        ;     Child Loop BB6_101 Depth 2
	v_lshlrev_b64 v[2:3], 3, v[0:1]
	v_add_co_u32_e32 v4, vcc, s48, v2
	v_addc_co_u32_e32 v5, vcc, v16, v3, vcc
	v_add_co_u32_e32 v2, vcc, s50, v2
	v_addc_co_u32_e32 v3, vcc, v17, v3, vcc
	global_load_dwordx4 v[12:15], v[2:3], off offset:-8
	s_nop 0
	global_load_dwordx2 v[4:5], v[4:5], off
	s_nop 0
	global_load_dwordx2 v[10:11], v1, s[48:49]
	s_and_b64 vcc, exec, s[6:7]
	s_waitcnt vmcnt(2)
	v_add_f64 v[12:13], |v[14:15]|, |v[12:13]|
	s_waitcnt vmcnt(1)
	v_add_f64 v[2:3], v[4:5], -v[12:13]
	s_waitcnt vmcnt(0)
	v_add_f64 v[14:15], v[10:11], -v[2:3]
	v_cmp_le_f64_e64 s[8:9], v[14:15], v[6:7]
	v_cndmask_b32_e64 v8, 0, 1, s[8:9]
	s_cbranch_vccnz .LBB6_99
; %bb.97:                               ;   in Loop: Header=BB6_96 Depth=1
	v_cmp_gt_f64_e64 s[54:55], v[14:15], -v[6:7]
	s_and_b64 vcc, s[8:9], s[54:55]
	v_cndmask_b32_e32 v15, v15, v18, vcc
	v_cndmask_b32_e32 v14, v14, v6, vcc
	s_mov_b64 s[54:55], s[14:15]
	s_mov_b64 s[56:57], s[42:43]
	s_mov_b32 s17, s33
.LBB6_98:                               ;   Parent Loop BB6_96 Depth=1
                                        ; =>  This Inner Loop Header: Depth=2
	global_load_dwordx2 v[20:21], v1, s[54:55]
	global_load_dwordx2 v[22:23], v1, s[56:57]
	s_add_i32 s17, s17, -1
	s_waitcnt vmcnt(1)
	v_add_f64 v[20:21], v[20:21], -v[2:3]
	s_waitcnt vmcnt(0)
	v_div_scale_f64 v[24:25], s[8:9], v[14:15], v[14:15], v[22:23]
	v_rcp_f64_e32 v[28:29], v[24:25]
	v_div_scale_f64 v[26:27], vcc, v[22:23], v[14:15], v[22:23]
	v_fma_f64 v[30:31], -v[24:25], v[28:29], 1.0
	v_fmac_f64_e32 v[28:29], v[28:29], v[30:31]
	v_fma_f64 v[30:31], -v[24:25], v[28:29], 1.0
	v_fmac_f64_e32 v[28:29], v[28:29], v[30:31]
	v_mul_f64 v[30:31], v[26:27], v[28:29]
	v_fma_f64 v[24:25], -v[24:25], v[30:31], v[26:27]
	v_div_fmas_f64 v[24:25], v[24:25], v[28:29], v[30:31]
	v_div_fixup_f64 v[14:15], v[24:25], v[14:15], v[22:23]
	v_add_f64 v[14:15], v[20:21], -v[14:15]
	v_cmp_gt_f64_e64 s[58:59], v[14:15], -v[6:7]
	v_cmp_le_f64_e32 vcc, v[14:15], v[6:7]
	v_addc_co_u32_e64 v8, s[8:9], 0, v8, vcc
	s_and_b64 vcc, vcc, s[58:59]
	s_add_u32 s56, s56, 8
	s_addc_u32 s57, s57, 0
	s_add_u32 s54, s54, 8
	s_addc_u32 s55, s55, 0
	v_cndmask_b32_e32 v15, v15, v18, vcc
	s_cmp_lg_u32 s17, 0
	v_cndmask_b32_e32 v14, v14, v6, vcc
	s_cbranch_scc1 .LBB6_98
.LBB6_99:                               ;   in Loop: Header=BB6_96 Depth=1
	v_add_f64 v[4:5], v[4:5], v[12:13]
	v_add_f64 v[10:11], v[10:11], -v[4:5]
	v_cmp_le_f64_e64 s[8:9], v[10:11], v[6:7]
	s_and_b64 vcc, exec, s[6:7]
	v_cndmask_b32_e64 v9, 0, 1, s[8:9]
	s_cbranch_vccnz .LBB6_95
; %bb.100:                              ;   in Loop: Header=BB6_96 Depth=1
	v_cmp_gt_f64_e64 s[54:55], v[10:11], -v[6:7]
	s_and_b64 vcc, s[8:9], s[54:55]
	v_cndmask_b32_e32 v11, v11, v18, vcc
	v_cndmask_b32_e32 v10, v10, v6, vcc
	s_mov_b64 s[54:55], s[14:15]
	s_mov_b64 s[56:57], s[42:43]
	s_mov_b32 s17, s33
.LBB6_101:                              ;   Parent Loop BB6_96 Depth=1
                                        ; =>  This Inner Loop Header: Depth=2
	global_load_dwordx2 v[12:13], v1, s[54:55]
	global_load_dwordx2 v[14:15], v1, s[56:57]
	s_add_i32 s17, s17, -1
	s_waitcnt vmcnt(1)
	v_add_f64 v[12:13], v[12:13], -v[4:5]
	s_waitcnt vmcnt(0)
	v_div_scale_f64 v[20:21], s[8:9], v[10:11], v[10:11], v[14:15]
	v_rcp_f64_e32 v[24:25], v[20:21]
	v_div_scale_f64 v[22:23], vcc, v[14:15], v[10:11], v[14:15]
	v_fma_f64 v[26:27], -v[20:21], v[24:25], 1.0
	v_fmac_f64_e32 v[24:25], v[24:25], v[26:27]
	v_fma_f64 v[26:27], -v[20:21], v[24:25], 1.0
	v_fmac_f64_e32 v[24:25], v[24:25], v[26:27]
	v_mul_f64 v[26:27], v[22:23], v[24:25]
	v_fma_f64 v[20:21], -v[20:21], v[26:27], v[22:23]
	v_div_fmas_f64 v[20:21], v[20:21], v[24:25], v[26:27]
	v_div_fixup_f64 v[10:11], v[20:21], v[10:11], v[14:15]
	v_add_f64 v[10:11], v[12:13], -v[10:11]
	v_cmp_gt_f64_e64 s[58:59], v[10:11], -v[6:7]
	v_cmp_le_f64_e32 vcc, v[10:11], v[6:7]
	v_addc_co_u32_e64 v9, s[8:9], 0, v9, vcc
	s_and_b64 vcc, vcc, s[58:59]
	s_add_u32 s56, s56, 8
	s_addc_u32 s57, s57, 0
	s_add_u32 s54, s54, 8
	s_addc_u32 s55, s55, 0
	v_cndmask_b32_e32 v11, v11, v18, vcc
	s_cmp_lg_u32 s17, 0
	v_cndmask_b32_e32 v10, v10, v6, vcc
	s_cbranch_scc1 .LBB6_101
	s_branch .LBB6_95
.LBB6_102:
	s_or_b64 exec, exec, s[52:53]
.LBB6_103:
	s_or_b64 exec, exec, s[12:13]
	s_and_saveexec_b64 s[6:7], s[2:3]
	s_cbranch_execz .LBB6_111
; %bb.104:
	s_ashr_i32 s3, s35, 31
	s_mov_b32 s2, s35
	s_lshl_b64 s[2:3], s[2:3], 3
	s_add_u32 s8, s48, s2
	s_addc_u32 s9, s49, s3
	s_add_u32 s2, s50, s2
	v_mov_b32_e32 v1, 0
	s_addc_u32 s3, s51, s3
	global_load_dwordx2 v[4:5], v1, s[2:3] offset:-16
	global_load_dwordx2 v[8:9], v1, s[8:9] offset:-8
	global_load_dwordx2 v[10:11], v1, s[48:49]
	s_cmp_gt_i32 s35, 1
	s_cselect_b64 s[8:9], -1, 0
	s_cmp_lt_i32 s35, 2
	s_waitcnt vmcnt(2)
	v_and_b32_e32 v14, 0x7fffffff, v5
	s_waitcnt vmcnt(1)
	v_add_f64 v[2:3], v[8:9], -|v[4:5]|
	s_waitcnt vmcnt(0)
	v_add_f64 v[12:13], v[10:11], -v[2:3]
	v_cmp_le_f64_e32 vcc, v[12:13], v[6:7]
	v_cndmask_b32_e64 v0, 0, 1, vcc
	s_cbranch_scc1 .LBB6_107
; %bb.105:
	v_cmp_gt_f64_e64 s[2:3], v[12:13], -v[6:7]
	s_and_b64 vcc, vcc, s[2:3]
	s_add_u32 s2, s44, s46
	s_addc_u32 s3, s45, s47
	s_add_u32 s2, s2, s36
	s_addc_u32 s3, s3, s37
	v_xor_b32_e32 v5, 0x80000000, v7
	s_add_u32 s12, s2, 8
	v_cndmask_b32_e32 v13, v13, v5, vcc
	v_cndmask_b32_e32 v12, v12, v6, vcc
	s_addc_u32 s13, s3, 0
	s_mov_b64 s[14:15], s[42:43]
	s_mov_b32 s17, s33
.LBB6_106:                              ; =>This Inner Loop Header: Depth=1
	global_load_dwordx2 v[16:17], v1, s[12:13]
	global_load_dwordx2 v[18:19], v1, s[14:15]
	s_add_i32 s17, s17, -1
	s_waitcnt vmcnt(1)
	v_add_f64 v[16:17], v[16:17], -v[2:3]
	s_waitcnt vmcnt(0)
	v_div_scale_f64 v[20:21], s[2:3], v[12:13], v[12:13], v[18:19]
	v_rcp_f64_e32 v[24:25], v[20:21]
	v_div_scale_f64 v[22:23], vcc, v[18:19], v[12:13], v[18:19]
	v_fma_f64 v[26:27], -v[20:21], v[24:25], 1.0
	v_fmac_f64_e32 v[24:25], v[24:25], v[26:27]
	v_fma_f64 v[26:27], -v[20:21], v[24:25], 1.0
	v_fmac_f64_e32 v[24:25], v[24:25], v[26:27]
	v_mul_f64 v[26:27], v[22:23], v[24:25]
	v_fma_f64 v[20:21], -v[20:21], v[26:27], v[22:23]
	v_div_fmas_f64 v[20:21], v[20:21], v[24:25], v[26:27]
	v_div_fixup_f64 v[12:13], v[20:21], v[12:13], v[18:19]
	v_add_f64 v[12:13], v[16:17], -v[12:13]
	v_cmp_gt_f64_e64 s[48:49], v[12:13], -v[6:7]
	v_cmp_le_f64_e32 vcc, v[12:13], v[6:7]
	v_addc_co_u32_e64 v0, s[2:3], 0, v0, vcc
	s_and_b64 vcc, vcc, s[48:49]
	s_add_u32 s14, s14, 8
	s_addc_u32 s15, s15, 0
	s_add_u32 s12, s12, 8
	s_addc_u32 s13, s13, 0
	v_cndmask_b32_e32 v13, v13, v5, vcc
	s_cmp_lg_u32 s17, 0
	v_cndmask_b32_e32 v12, v12, v6, vcc
	s_cbranch_scc1 .LBB6_106
.LBB6_107:
	v_mov_b32_e32 v5, v14
	v_add_f64 v[4:5], v[8:9], v[4:5]
	v_add_f64 v[8:9], v[10:11], -v[4:5]
	v_cmp_le_f64_e64 s[2:3], v[8:9], v[6:7]
	s_andn2_b64 vcc, exec, s[8:9]
	v_cndmask_b32_e64 v1, 0, 1, s[2:3]
	s_cbranch_vccnz .LBB6_110
; %bb.108:
	v_cmp_gt_f64_e64 s[8:9], v[8:9], -v[6:7]
	s_and_b64 vcc, s[2:3], s[8:9]
	s_add_u32 s2, s44, s46
	s_addc_u32 s3, s45, s47
	s_add_u32 s2, s2, s36
	s_addc_u32 s3, s3, s37
	v_xor_b32_e32 v10, 0x80000000, v7
	s_add_u32 s8, s2, 8
	v_cndmask_b32_e32 v9, v9, v10, vcc
	v_cndmask_b32_e32 v8, v8, v6, vcc
	s_addc_u32 s9, s3, 0
	v_mov_b32_e32 v11, 0
.LBB6_109:                              ; =>This Inner Loop Header: Depth=1
	global_load_dwordx2 v[12:13], v11, s[8:9]
	global_load_dwordx2 v[14:15], v11, s[42:43]
	s_add_i32 s33, s33, -1
	s_waitcnt vmcnt(1)
	v_add_f64 v[12:13], v[12:13], -v[4:5]
	s_waitcnt vmcnt(0)
	v_div_scale_f64 v[16:17], s[2:3], v[8:9], v[8:9], v[14:15]
	v_rcp_f64_e32 v[20:21], v[16:17]
	v_div_scale_f64 v[18:19], vcc, v[14:15], v[8:9], v[14:15]
	v_fma_f64 v[22:23], -v[16:17], v[20:21], 1.0
	v_fmac_f64_e32 v[20:21], v[20:21], v[22:23]
	v_fma_f64 v[22:23], -v[16:17], v[20:21], 1.0
	v_fmac_f64_e32 v[20:21], v[20:21], v[22:23]
	v_mul_f64 v[22:23], v[18:19], v[20:21]
	v_fma_f64 v[16:17], -v[16:17], v[22:23], v[18:19]
	v_div_fmas_f64 v[16:17], v[16:17], v[20:21], v[22:23]
	v_div_fixup_f64 v[8:9], v[16:17], v[8:9], v[14:15]
	v_add_f64 v[8:9], v[12:13], -v[8:9]
	v_cmp_gt_f64_e64 s[12:13], v[8:9], -v[6:7]
	v_cmp_le_f64_e32 vcc, v[8:9], v[6:7]
	v_addc_co_u32_e64 v1, s[2:3], 0, v1, vcc
	s_and_b64 vcc, vcc, s[12:13]
	s_add_u32 s42, s42, 8
	s_addc_u32 s43, s43, 0
	s_add_u32 s8, s8, 8
	s_addc_u32 s9, s9, 0
	v_cndmask_b32_e32 v9, v9, v10, vcc
	s_cmp_lg_u32 s33, 0
	v_cndmask_b32_e32 v8, v8, v6, vcc
	s_cbranch_scc1 .LBB6_109
.LBB6_110:
	s_ashr_i32 s17, s16, 31
	s_lshl_b64 s[2:3], s[16:17], 3
	s_add_u32 s2, s10, s2
	s_addc_u32 s3, s11, s3
	s_lshl_b64 s[8:9], s[16:17], 2
	v_mov_b32_e32 v8, 0
	s_add_u32 s8, s22, s8
	s_addc_u32 s9, s23, s9
	global_store_dwordx4 v8, v[2:5], s[2:3] offset:-16
	global_store_dwordx2 v8, v[0:1], s[8:9] offset:-8
.LBB6_111:
	s_or_b64 exec, exec, s[6:7]
	s_barrier
	s_and_saveexec_b64 s[6:7], s[0:1]
	s_cbranch_execz .LBB6_135
; %bb.112:
	s_cmp_gt_i32 s35, 0
	s_cselect_b64 s[12:13], -1, 0
	s_cmp_lt_i32 s35, 1
	s_mov_b32 s8, 1
	s_cbranch_scc1 .LBB6_120
; %bb.113:
	s_cmp_lg_u64 s[28:29], 0
	s_cselect_b64 s[2:3], -1, 0
	s_add_u32 s17, s10, -8
	s_addc_u32 s33, s11, -1
	s_add_u32 s42, s22, -4
	s_addc_u32 s43, s23, -1
	s_add_u32 s9, s38, s26
	s_addc_u32 s15, s39, s27
	s_add_u32 s14, s9, 8
	v_cndmask_b32_e64 v0, 0, 1, s[2:3]
	s_addc_u32 s15, s15, 0
	v_mov_b32_e32 v4, 0
	v_cmp_ne_u32_e64 s[2:3], 1, v0
	s_branch .LBB6_115
.LBB6_114:                              ;   in Loop: Header=BB6_115 Depth=1
	s_add_i32 s8, s8, 1
	s_add_u32 s14, s14, 8
	s_addc_u32 s15, s15, 0
	s_cmp_lg_u32 s8, s16
	s_cbranch_scc0 .LBB6_120
.LBB6_115:                              ; =>This Loop Header: Depth=1
                                        ;     Child Loop BB6_116 Depth 2
	s_ashr_i32 s9, s8, 31
	s_add_i32 s27, s8, -1
	s_lshl_b64 s[36:37], s[8:9], 3
	s_add_u32 s36, s17, s36
	s_addc_u32 s37, s33, s37
	global_load_dwordx2 v[0:1], v4, s[36:37]
	s_mov_b64 s[38:39], s[14:15]
	s_mov_b32 s44, s8
	s_mov_b32 s26, s27
	s_waitcnt vmcnt(0)
	v_pk_mov_b32 v[2:3], v[0:1], v[0:1] op_sel:[0,1]
.LBB6_116:                              ;   Parent Loop BB6_115 Depth=1
                                        ; =>  This Inner Loop Header: Depth=2
	global_load_dwordx2 v[8:9], v4, s[38:39]
	s_waitcnt vmcnt(0)
	v_cmp_lt_f64_e32 vcc, v[8:9], v[2:3]
	s_and_b64 s[46:47], vcc, exec
	s_cselect_b32 s26, s44, s26
	s_add_i32 s44, s44, 1
	s_add_u32 s38, s38, 8
	s_addc_u32 s39, s39, 0
	v_cndmask_b32_e32 v3, v3, v9, vcc
	s_cmp_ge_i32 s44, s16
	v_cndmask_b32_e32 v2, v2, v8, vcc
	s_cbranch_scc0 .LBB6_116
; %bb.117:                              ;   in Loop: Header=BB6_115 Depth=1
	s_cmp_lg_u32 s26, s27
	s_cbranch_scc0 .LBB6_114
; %bb.118:                              ;   in Loop: Header=BB6_115 Depth=1
	s_ashr_i32 s27, s26, 31
	s_lshl_b64 s[38:39], s[26:27], 3
	s_add_u32 s38, s10, s38
	s_addc_u32 s39, s11, s39
	s_and_b64 vcc, exec, s[2:3]
	global_store_dwordx2 v4, v[0:1], s[38:39]
	global_store_dwordx2 v4, v[2:3], s[36:37]
	s_cbranch_vccnz .LBB6_114
; %bb.119:                              ;   in Loop: Header=BB6_115 Depth=1
	s_lshl_b64 s[36:37], s[8:9], 2
	s_add_u32 s36, s42, s36
	s_addc_u32 s37, s43, s37
	s_lshl_b64 s[26:27], s[26:27], 2
	s_add_u32 s26, s22, s26
	s_addc_u32 s27, s23, s27
	global_load_dword v0, v4, s[36:37]
	global_load_dword v1, v4, s[26:27]
	s_waitcnt vmcnt(1)
	global_store_dword v4, v0, s[26:27]
	s_waitcnt vmcnt(1)
	global_store_dword v4, v1, s[36:37]
	s_branch .LBB6_114
.LBB6_120:
	s_ashr_i32 s17, s16, 31
	s_lshl_b64 s[2:3], s[16:17], 3
	v_mov_b32_e32 v0, 0
	s_add_u32 s14, s10, s2
	s_addc_u32 s15, s11, s3
	global_load_dwordx2 v[2:3], v0, s[10:11]
	global_load_dwordx2 v[4:5], v0, s[14:15] offset:-8
	s_load_dwordx2 s[8:9], s[4:5], 0x18
	v_cvt_f64_i32_e32 v[8:9], s35
	v_cndmask_b32_e64 v1, 0, 1, s[12:13]
	v_cmp_ne_u32_e64 s[2:3], 1, v1
	s_andn2_b64 vcc, exec, s[12:13]
	s_waitcnt vmcnt(0)
	v_cmp_lt_f64_e64 s[4:5], |v[2:3]|, |v[4:5]|
	v_cndmask_b32_e64 v11, v3, v5, s[4:5]
	v_cndmask_b32_e64 v10, v2, v4, s[4:5]
	v_mul_f64 v[10:11], |v[10:11]|, s[30:31]
	v_fma_f64 v[2:3], -v[10:11], v[8:9], v[2:3]
	v_fmac_f64_e32 v[4:5], v[10:11], v[8:9]
	v_add_f64 v[2:3], v[2:3], -v[6:7]
	v_add_f64 v[4:5], v[6:7], v[4:5]
	global_store_dwordx2 v0, v[2:3], s[10:11]
	global_store_dwordx2 v0, v[4:5], s[14:15] offset:-8
	s_cbranch_vccnz .LBB6_126
; %bb.121:
	s_max_i32 s13, s16, 2
	s_add_i32 s13, s13, -1
	s_add_u32 s4, s18, s28
	s_addc_u32 s5, s19, s29
	s_add_u32 s4, s4, 4
	s_addc_u32 s5, s5, 0
	s_mov_b32 s17, 0
	s_branch .LBB6_123
.LBB6_122:                              ;   in Loop: Header=BB6_123 Depth=1
	s_add_i32 s17, s17, 1
	s_add_u32 s4, s4, 4
	s_addc_u32 s5, s5, 0
	s_cmp_eq_u32 s13, s17
	s_cselect_b64 s[14:15], -1, 0
	s_mov_b32 s12, s13
	s_andn2_b64 vcc, exec, s[14:15]
	s_cbranch_vccz .LBB6_125
.LBB6_123:                              ; =>This Inner Loop Header: Depth=1
	global_load_dword v1, v0, s[4:5]
	s_mov_b64 s[14:15], -1
	s_waitcnt vmcnt(0) lgkmcnt(0)
	v_cmp_le_i32_e32 vcc, s8, v1
	s_cbranch_vccz .LBB6_122
; %bb.124:                              ;   in Loop: Header=BB6_123 Depth=1
                                        ; implicit-def: $sgpr4_sgpr5
	s_mov_b32 s12, s17
	s_andn2_b64 vcc, exec, s[14:15]
	s_cbranch_vccnz .LBB6_123
.LBB6_125:
	s_mov_b32 s13, 0
	s_branch .LBB6_127
.LBB6_126:
	s_mov_b64 s[12:13], 0
.LBB6_127:
	s_lshl_b64 s[4:5], s[12:13], 3
	s_add_u32 s4, s10, s4
	s_addc_u32 s5, s11, s5
	v_mov_b32_e32 v0, 0
	global_load_dwordx2 v[2:3], v0, s[4:5]
	s_and_b64 vcc, exec, s[2:3]
	s_mov_b32 s5, 1
	s_cbranch_vccnz .LBB6_133
; %bb.128:
	s_waitcnt lgkmcnt(0)
	s_max_i32 s8, s16, 2
	s_add_i32 s14, s8, -1
	s_add_u32 s2, s18, s28
	s_addc_u32 s3, s19, s29
	s_add_u32 s2, s2, 4
	s_addc_u32 s3, s3, 0
	s_branch .LBB6_130
.LBB6_129:                              ;   in Loop: Header=BB6_130 Depth=1
	s_mov_b32 s4, s5
                                        ; implicit-def: $sgpr2_sgpr3
	s_andn2_b64 vcc, exec, s[12:13]
	s_cbranch_vccz .LBB6_132
.LBB6_130:                              ; =>This Inner Loop Header: Depth=1
	global_load_dword v1, v0, s[2:3]
	s_mov_b64 s[12:13], -1
	s_waitcnt vmcnt(0)
	v_cmp_gt_i32_e32 vcc, s9, v1
	s_cbranch_vccz .LBB6_129
; %bb.131:                              ;   in Loop: Header=BB6_130 Depth=1
	s_add_i32 s5, s5, 1
	s_add_u32 s2, s2, 4
	s_addc_u32 s3, s3, 0
	s_cmp_eq_u32 s8, s5
	s_cselect_b64 s[12:13], -1, 0
	s_mov_b32 s4, s14
	s_andn2_b64 vcc, exec, s[12:13]
	s_cbranch_vccnz .LBB6_130
.LBB6_132:
	s_ashr_i32 s5, s4, 31
	s_branch .LBB6_134
.LBB6_133:
	s_mov_b64 s[4:5], 0
.LBB6_134:
	s_lshl_b64 s[2:3], s[4:5], 3
	s_add_u32 s2, s10, s2
	s_addc_u32 s3, s11, s3
	v_mov_b32_e32 v0, 0
	global_load_dwordx2 v[4:5], v0, s[2:3]
.LBB6_135:
	s_or_b64 exec, exec, s[6:7]
	s_and_saveexec_b64 s[2:3], s[0:1]
	s_cbranch_execz .LBB6_84
.LBB6_136:
	s_lshl_b64 s[0:1], s[40:41], 3
	s_add_u32 s0, s20, s0
	s_addc_u32 s1, s21, s1
	s_lshl_b32 s2, s40, 1
	s_ashr_i32 s3, s2, 31
	s_lshl_b64 s[2:3], s[2:3], 3
	s_add_u32 s2, s24, s2
	s_addc_u32 s3, s25, s3
	s_cmpk_eq_i32 s34, 0xe7
	v_mov_b32_e32 v0, 0
	s_cselect_b64 s[4:5], -1, 0
	s_waitcnt vmcnt(0)
	v_cndmask_b32_e64 v5, v5, 0, s[4:5]
	v_cndmask_b32_e64 v4, v4, 0, s[4:5]
	;; [unrolled: 1-line block ×4, first 2 shown]
	global_store_dwordx2 v0, v[6:7], s[0:1]
	global_store_dwordx4 v0, v[2:5], s[2:3]
	s_endpgm
	.section	.rodata,"a",@progbits
	.p2align	6, 0x0
	.amdhsa_kernel _ZN9rocsolver6v33100L22stebz_splitting_kernelIdPdEEv15rocblas_erange_iT_S4_iiT0_iiS5_iiPiPS4_lS6_lS6_S7_S7_S7_S7_S6_S4_S4_
		.amdhsa_group_segment_fixed_size 3072
		.amdhsa_private_segment_fixed_size 0
		.amdhsa_kernarg_size 168
		.amdhsa_user_sgpr_count 6
		.amdhsa_user_sgpr_private_segment_buffer 1
		.amdhsa_user_sgpr_dispatch_ptr 0
		.amdhsa_user_sgpr_queue_ptr 0
		.amdhsa_user_sgpr_kernarg_segment_ptr 1
		.amdhsa_user_sgpr_dispatch_id 0
		.amdhsa_user_sgpr_flat_scratch_init 0
		.amdhsa_user_sgpr_kernarg_preload_length 0
		.amdhsa_user_sgpr_kernarg_preload_offset 0
		.amdhsa_user_sgpr_private_segment_size 0
		.amdhsa_uses_dynamic_stack 0
		.amdhsa_system_sgpr_private_segment_wavefront_offset 0
		.amdhsa_system_sgpr_workgroup_id_x 1
		.amdhsa_system_sgpr_workgroup_id_y 1
		.amdhsa_system_sgpr_workgroup_id_z 0
		.amdhsa_system_sgpr_workgroup_info 0
		.amdhsa_system_vgpr_workitem_id 0
		.amdhsa_next_free_vgpr 44
		.amdhsa_next_free_sgpr 60
		.amdhsa_accum_offset 44
		.amdhsa_reserve_vcc 1
		.amdhsa_reserve_flat_scratch 0
		.amdhsa_float_round_mode_32 0
		.amdhsa_float_round_mode_16_64 0
		.amdhsa_float_denorm_mode_32 3
		.amdhsa_float_denorm_mode_16_64 3
		.amdhsa_dx10_clamp 1
		.amdhsa_ieee_mode 1
		.amdhsa_fp16_overflow 0
		.amdhsa_tg_split 0
		.amdhsa_exception_fp_ieee_invalid_op 0
		.amdhsa_exception_fp_denorm_src 0
		.amdhsa_exception_fp_ieee_div_zero 0
		.amdhsa_exception_fp_ieee_overflow 0
		.amdhsa_exception_fp_ieee_underflow 0
		.amdhsa_exception_fp_ieee_inexact 0
		.amdhsa_exception_int_div_zero 0
	.end_amdhsa_kernel
	.section	.text._ZN9rocsolver6v33100L22stebz_splitting_kernelIdPdEEv15rocblas_erange_iT_S4_iiT0_iiS5_iiPiPS4_lS6_lS6_S7_S7_S7_S7_S6_S4_S4_,"axG",@progbits,_ZN9rocsolver6v33100L22stebz_splitting_kernelIdPdEEv15rocblas_erange_iT_S4_iiT0_iiS5_iiPiPS4_lS6_lS6_S7_S7_S7_S7_S6_S4_S4_,comdat
.Lfunc_end6:
	.size	_ZN9rocsolver6v33100L22stebz_splitting_kernelIdPdEEv15rocblas_erange_iT_S4_iiT0_iiS5_iiPiPS4_lS6_lS6_S7_S7_S7_S7_S6_S4_S4_, .Lfunc_end6-_ZN9rocsolver6v33100L22stebz_splitting_kernelIdPdEEv15rocblas_erange_iT_S4_iiT0_iiS5_iiPiPS4_lS6_lS6_S7_S7_S7_S7_S6_S4_S4_
                                        ; -- End function
	.section	.AMDGPU.csdata,"",@progbits
; Kernel info:
; codeLenInByte = 6600
; NumSgprs: 64
; NumVgprs: 44
; NumAgprs: 0
; TotalNumVgprs: 44
; ScratchSize: 0
; MemoryBound: 0
; FloatMode: 240
; IeeeMode: 1
; LDSByteSize: 3072 bytes/workgroup (compile time only)
; SGPRBlocks: 7
; VGPRBlocks: 5
; NumSGPRsForWavesPerEU: 64
; NumVGPRsForWavesPerEU: 44
; AccumOffset: 44
; Occupancy: 8
; WaveLimiterHint : 0
; COMPUTE_PGM_RSRC2:SCRATCH_EN: 0
; COMPUTE_PGM_RSRC2:USER_SGPR: 6
; COMPUTE_PGM_RSRC2:TRAP_HANDLER: 0
; COMPUTE_PGM_RSRC2:TGID_X_EN: 1
; COMPUTE_PGM_RSRC2:TGID_Y_EN: 1
; COMPUTE_PGM_RSRC2:TGID_Z_EN: 0
; COMPUTE_PGM_RSRC2:TIDIG_COMP_CNT: 0
; COMPUTE_PGM_RSRC3_GFX90A:ACCUM_OFFSET: 10
; COMPUTE_PGM_RSRC3_GFX90A:TG_SPLIT: 0
	.section	.text._ZN9rocsolver6v33100L22stebz_bisection_kernelIdPdEEv15rocblas_erange_iT_T0_iiS5_iiPiPS4_lS6_lS6_lS6_S6_S7_S7_S7_S7_S6_S4_S4_,"axG",@progbits,_ZN9rocsolver6v33100L22stebz_bisection_kernelIdPdEEv15rocblas_erange_iT_T0_iiS5_iiPiPS4_lS6_lS6_lS6_S6_S7_S7_S7_S7_S6_S4_S4_,comdat
	.globl	_ZN9rocsolver6v33100L22stebz_bisection_kernelIdPdEEv15rocblas_erange_iT_T0_iiS5_iiPiPS4_lS6_lS6_lS6_S6_S7_S7_S7_S7_S6_S4_S4_ ; -- Begin function _ZN9rocsolver6v33100L22stebz_bisection_kernelIdPdEEv15rocblas_erange_iT_T0_iiS5_iiPiPS4_lS6_lS6_lS6_S6_S7_S7_S7_S7_S6_S4_S4_
	.p2align	8
	.type	_ZN9rocsolver6v33100L22stebz_bisection_kernelIdPdEEv15rocblas_erange_iT_T0_iiS5_iiPiPS4_lS6_lS6_lS6_S6_S7_S7_S7_S7_S6_S4_S4_,@function
_ZN9rocsolver6v33100L22stebz_bisection_kernelIdPdEEv15rocblas_erange_iT_T0_iiS5_iiPiPS4_lS6_lS6_lS6_S6_S7_S7_S7_S7_S6_S4_S4_: ; @_ZN9rocsolver6v33100L22stebz_bisection_kernelIdPdEEv15rocblas_erange_iT_T0_iiS5_iiPiPS4_lS6_lS6_lS6_S6_S7_S7_S7_S7_S6_S4_S4_
; %bb.0:
	s_load_dwordx16 s[8:23], s[4:5], 0x30
	s_mov_b32 s0, s7
	s_ashr_i32 s1, s7, 31
	s_lshl_b64 s[2:3], s[0:1], 2
	s_waitcnt lgkmcnt(0)
	s_add_u32 s8, s8, s2
	s_addc_u32 s9, s9, s3
	s_load_dword s33, s[8:9], 0x0
	s_waitcnt lgkmcnt(0)
	s_cmp_ge_i32 s6, s33
	s_cbranch_scc1 .LBB7_102
; %bb.1:
	s_load_dwordx8 s[24:31], s[4:5], 0x8
	s_load_dwordx2 s[60:61], s[4:5], 0x0
	s_load_dwordx2 s[8:9], s[4:5], 0x28
	s_load_dwordx8 s[36:43], s[4:5], 0x90
	s_load_dwordx8 s[44:51], s[4:5], 0x70
	s_waitcnt lgkmcnt(0)
	s_mul_hi_i32 s35, s29, s0
	s_mul_i32 s34, s29, s0
	s_ashr_i32 s5, s28, 31
	s_lshl_b64 s[52:53], s[34:35], 3
	s_mov_b32 s4, s28
	s_add_u32 s7, s26, s52
	s_addc_u32 s28, s27, s53
	s_lshl_b64 s[54:55], s[4:5], 3
	s_add_u32 s72, s7, s54
	s_addc_u32 s73, s28, s55
	s_mul_hi_i32 s29, s9, s0
	s_mul_i32 s28, s9, s0
	s_ashr_i32 s5, s8, 31
	s_lshl_b64 s[56:57], s[28:29], 3
	s_mov_b32 s4, s8
	s_add_u32 s7, s30, s56
	s_addc_u32 s8, s31, s57
	s_lshl_b64 s[58:59], s[4:5], 3
	s_add_u32 s74, s7, s58
	s_mul_i32 s4, s0, s13
	s_mul_hi_u32 s5, s0, s12
	s_addc_u32 s75, s8, s59
	s_add_i32 s4, s5, s4
	s_mul_i32 s5, s1, s12
	s_add_i32 s5, s4, s5
	s_mul_i32 s4, s0, s12
	s_lshl_b64 s[4:5], s[4:5], 3
	s_add_u32 s76, s10, s4
	s_addc_u32 s77, s11, s5
	s_mul_i32 s4, s0, s17
	s_mul_hi_u32 s5, s0, s16
	s_add_i32 s4, s5, s4
	s_mul_i32 s5, s1, s16
	s_add_i32 s5, s4, s5
	s_mul_i32 s4, s0, s16
	s_lshl_b64 s[4:5], s[4:5], 2
	s_add_u32 s78, s14, s4
	s_addc_u32 s79, s15, s5
	s_mul_i32 s4, s0, s21
	s_mul_hi_u32 s5, s0, s20
	s_add_i32 s4, s5, s4
	s_mul_i32 s5, s1, s20
	s_add_i32 s5, s4, s5
	s_mul_i32 s4, s0, s20
	s_lshl_b64 s[4:5], s[4:5], 2
	s_add_u32 s80, s18, s4
	s_addc_u32 s81, s19, s5
	s_add_i32 s4, s61, -1
	s_mul_i32 s4, s4, s0
	s_ashr_i32 s5, s4, 31
	s_lshl_b64 s[4:5], s[4:5], 3
	s_add_u32 s82, s48, s4
	s_addc_u32 s83, s49, s5
	s_lshl_b32 s4, s0, 1
	s_ashr_i32 s5, s4, 31
	s_lshl_b64 s[4:5], s[4:5], 3
	s_add_u32 s16, s50, s4
	s_addc_u32 s17, s51, s5
	s_lshl_b64 s[4:5], s[0:1], 3
	s_add_u32 s4, s46, s4
	s_addc_u32 s5, s47, s5
	s_add_u32 s2, s22, s2
	s_addc_u32 s3, s23, s3
                                        ; implicit-def: $vgpr63 : SGPR spill to VGPR lane
	s_mul_i32 s0, s0, s61
	v_writelane_b32 v63, s2, 0
	v_writelane_b32 v63, s3, 1
	s_lshl_b32 s2, s0, 2
	s_ashr_i32 s3, s2, 31
	s_load_dwordx2 s[18:19], s[4:5], 0x0
	s_lshl_b64 s[4:5], s[2:3], 3
	s_add_u32 s84, s36, s4
	s_addc_u32 s85, s37, s5
	s_lshl_b64 s[2:3], s[2:3], 2
	s_add_u32 s86, s38, s2
	s_addc_u32 s87, s39, s3
	s_ashr_i32 s1, s0, 31
	s_lshl_b64 s[0:1], s[0:1], 2
	s_add_u32 s88, s44, s0
	s_mov_b32 s8, 0x55555555
	s_addc_u32 s89, s45, s1
	s_waitcnt lgkmcnt(0)
	v_frexp_mant_f64_e32 v[2:3], s[18:19]
	s_mov_b32 s9, 0x3fe55555
	s_cmpk_lg_i32 s60, 0xe7
	v_cmp_gt_f64_e32 vcc, s[8:9], v[2:3]
	s_cselect_b64 s[22:23], -1, 0
	s_and_b64 s[8:9], vcc, exec
	s_mov_b32 s28, 0
	s_cselect_b32 s29, 2.0, 0x3ff00000
	v_mul_f64 v[2:3], v[2:3], s[28:29]
	v_add_f64 v[4:5], v[2:3], 1.0
	v_rcp_f64_e32 v[6:7], v[4:5]
	v_add_f64 v[10:11], v[4:5], -1.0
	v_add_f64 v[8:9], v[2:3], -1.0
	v_add_f64 v[2:3], v[2:3], -v[10:11]
	v_fma_f64 v[10:11], -v[4:5], v[6:7], 1.0
	v_fmac_f64_e32 v[6:7], v[10:11], v[6:7]
	v_fma_f64 v[10:11], -v[4:5], v[6:7], 1.0
	v_fmac_f64_e32 v[6:7], v[10:11], v[6:7]
	v_mul_f64 v[10:11], v[8:9], v[6:7]
	v_mul_f64 v[12:13], v[4:5], v[10:11]
	v_fma_f64 v[4:5], v[10:11], v[4:5], -v[12:13]
	v_fmac_f64_e32 v[4:5], v[10:11], v[2:3]
	v_add_f64 v[2:3], v[12:13], v[4:5]
	v_add_f64 v[14:15], v[8:9], -v[2:3]
	v_add_f64 v[12:13], v[2:3], -v[12:13]
	;; [unrolled: 1-line block ×5, first 2 shown]
	v_add_f64 v[2:3], v[4:5], v[2:3]
	v_add_f64 v[2:3], v[14:15], v[2:3]
	v_mul_f64 v[2:3], v[6:7], v[2:3]
	v_add_f64 v[4:5], v[10:11], v[2:3]
	v_add_f64 v[6:7], v[4:5], -v[10:11]
	v_mov_b32_e32 v14, 0x6b47b09a
	v_mov_b32_e32 v15, 0x3fc38538
	s_mov_b32 s38, 0xbf559e2b
	v_add_f64 v[2:3], v[2:3], -v[6:7]
	v_mul_f64 v[6:7], v[4:5], v[4:5]
	s_mov_b32 s39, 0x3fc3ab76
	v_pk_mov_b32 v[8:9], v[14:15], v[14:15] op_sel:[0,1]
	v_mov_b32_e32 v16, 0xd7f4df2e
	v_mov_b32_e32 v17, 0x3fc7474d
	v_fmac_f64_e32 v[8:9], s[38:39], v[6:7]
	v_pk_mov_b32 v[10:11], v[16:17], v[16:17] op_sel:[0,1]
	v_mov_b32_e32 v18, 0x16291751
	v_mov_b32_e32 v19, 0x3fcc71c0
	v_fmac_f64_e32 v[10:11], v[6:7], v[8:9]
	;; [unrolled: 4-line block ×5, first 2 shown]
	v_pk_mov_b32 v[10:11], v[24:25], v[24:25] op_sel:[0,1]
	v_fmac_f64_e32 v[10:11], v[6:7], v[8:9]
	v_ldexp_f64 v[8:9], v[4:5], 1
	v_mul_f64 v[4:5], v[4:5], v[6:7]
	v_mul_f64 v[4:5], v[4:5], v[10:11]
	v_add_f64 v[6:7], v[8:9], v[4:5]
	v_add_f64 v[8:9], v[6:7], -v[8:9]
	v_ldexp_f64 v[2:3], v[2:3], 1
	v_add_f64 v[4:5], v[4:5], -v[8:9]
	v_add_f64 v[2:3], v[2:3], v[4:5]
	v_frexp_exp_i32_f64_e32 v1, s[18:19]
	v_add_f64 v[4:5], v[6:7], v[2:3]
	v_subbrev_co_u32_e64 v1, s[8:9], 0, v1, vcc
	v_add_f64 v[6:7], v[4:5], -v[6:7]
	s_mov_b32 s42, 0xfefa39ef
	v_add_f64 v[2:3], v[2:3], -v[6:7]
	v_cvt_f64_i32_e32 v[6:7], v1
	s_mov_b32 s43, 0x3fe62e42
	v_mul_f64 v[8:9], v[6:7], s[42:43]
	s_mov_b32 s44, 0x3b39803f
	v_fma_f64 v[10:11], v[6:7], s[42:43], -v[8:9]
	s_mov_b32 s45, 0x3c7abc9e
	v_fmac_f64_e32 v[10:11], s[44:45], v[6:7]
	v_add_f64 v[6:7], v[8:9], v[10:11]
	v_add_f64 v[8:9], v[6:7], -v[8:9]
	v_add_f64 v[8:9], v[10:11], -v[8:9]
	v_add_f64 v[10:11], v[6:7], v[4:5]
	v_add_f64 v[12:13], v[10:11], -v[6:7]
	v_add_f64 v[26:27], v[10:11], -v[12:13]
	s_add_u32 s90, s80, -4
	v_add_f64 v[6:7], v[6:7], -v[26:27]
	v_add_f64 v[4:5], v[4:5], -v[12:13]
	s_addc_u32 s91, s81, -1
	v_add_f64 v[4:5], v[4:5], v[6:7]
	v_add_f64 v[6:7], v[8:9], v[2:3]
	s_add_u32 s7, s52, s54
	v_add_f64 v[12:13], v[6:7], -v[8:9]
	s_addc_u32 s12, s53, s55
	v_add_f64 v[26:27], v[6:7], -v[12:13]
	v_add_f64 v[4:5], v[6:7], v[4:5]
	s_add_u32 s7, s7, s26
	v_add_f64 v[8:9], v[8:9], -v[26:27]
	v_add_f64 v[2:3], v[2:3], -v[12:13]
	v_add_f64 v[6:7], v[10:11], v[4:5]
	s_addc_u32 s12, s12, s27
	v_add_f64 v[2:3], v[2:3], v[8:9]
	v_add_f64 v[8:9], v[6:7], -v[10:11]
	s_add_u32 s92, s7, 8
	v_add_f64 v[4:5], v[4:5], -v[8:9]
	s_addc_u32 s93, s12, 0
	v_add_f64 v[2:3], v[2:3], v[4:5]
	v_mov_b32_e32 v1, 0x204
	s_add_u32 s7, s56, s58
	v_add_f64 v[2:3], v[6:7], v[2:3]
	v_mov_b32_e32 v4, s18
	v_cmp_class_f64_e32 vcc, s[18:19], v1
	v_mov_b32_e32 v1, s19
	s_addc_u32 s12, s57, s59
	v_cndmask_b32_e32 v2, v2, v4, vcc
	v_cndmask_b32_e32 v3, v3, v1, vcc
	v_mov_b32_e32 v1, 0x7ff80000
	v_cmp_nlt_f64_e64 vcc, s[18:19], 0
	s_add_u32 s7, s7, s30
	v_cndmask_b32_e32 v3, v1, v3, vcc
	v_cmp_nle_f64_e64 vcc, s[18:19], 0
	s_addc_u32 s12, s12, s31
	v_cndmask_b32_e32 v26, 0, v2, vcc
	v_mov_b32_e32 v32, 0xfff00000
	v_cmp_neq_f64_e64 vcc, s[18:19], 0
	v_mov_b32_e32 v33, 0x1800
	v_mov_b32_e32 v2, 0x1000
	v_and_b32_e32 v37, 0x7c, v0
	s_add_u32 s94, s7, 8
	v_cmp_lt_f64_e64 s[0:1], s[24:25], 0
	s_mov_b32 s37, s61
	v_cmp_eq_u32_e64 s[2:3], 0, v0
	v_cmp_ne_u32_e64 s[4:5], 0, v0
	s_movk_i32 s34, 0x204
	v_cndmask_b32_e32 v27, v32, v3, vcc
	v_lshl_or_b32 v34, v0, 2, v33
	v_lshlrev_b32_e32 v35, 5, v0
	v_lshl_or_b32 v36, v0, 4, v2
	v_add_f64 v[28:29], s[40:41], s[40:41]
	v_cmp_lt_u32_e64 s[8:9], 3, v0
	v_cmp_ne_u32_e64 s[10:11], v0, v37
	s_addc_u32 s95, s12, 0
	v_mov_b32_e32 v38, 0
	v_mov_b32_e32 v39, 1
                                        ; implicit-def: $vgpr40
                                        ; implicit-def: $vgpr41
                                        ; implicit-def: $vgpr42
                                        ; implicit-def: $vgpr43
                                        ; implicit-def: $vgpr44
	s_branch .LBB7_4
.LBB7_2:                                ;   in Loop: Header=BB7_4 Depth=1
	s_or_b64 exec, exec, s[12:13]
	v_mov_b32_e32 v5, v44
	v_mov_b32_e32 v47, v43
	v_mov_b32_e32 v45, v42
	v_mov_b32_e32 v48, v41
	v_mov_b32_e32 v46, v40
.LBB7_3:                                ;   in Loop: Header=BB7_4 Depth=1
	s_add_i32 s6, s6, 64
	s_cmp_lt_i32 s6, s33
	v_mov_b32_e32 v40, v46
	v_mov_b32_e32 v41, v48
	v_mov_b32_e32 v42, v45
	v_mov_b32_e32 v43, v47
	v_mov_b32_e32 v44, v5
	s_barrier
	s_cbranch_scc0 .LBB7_102
.LBB7_4:                                ; =>This Loop Header: Depth=1
                                        ;     Child Loop BB7_9 Depth 2
                                        ;     Child Loop BB7_22 Depth 2
	;; [unrolled: 1-line block ×4, first 2 shown]
                                        ;       Child Loop BB7_42 Depth 3
                                        ;         Child Loop BB7_45 Depth 4
                                        ;         Child Loop BB7_59 Depth 4
	;; [unrolled: 1-line block ×3, first 2 shown]
                                        ;     Child Loop BB7_84 Depth 2
                                        ;       Child Loop BB7_86 Depth 3
	s_ashr_i32 s7, s6, 31
	s_cmp_eq_u32 s6, 0
	s_mov_b32 s26, 0
	s_cbranch_scc1 .LBB7_6
; %bb.5:                                ;   in Loop: Header=BB7_4 Depth=1
	s_lshl_b64 s[12:13], s[6:7], 2
	s_add_u32 s12, s90, s12
	s_addc_u32 s13, s91, s13
	global_load_dword v2, v38, s[12:13]
	s_waitcnt vmcnt(0)
	v_readfirstlane_b32 s26, v2
.LBB7_6:                                ;   in Loop: Header=BB7_4 Depth=1
	s_lshl_b64 s[30:31], s[6:7], 2
	s_add_u32 s12, s80, s30
	s_addc_u32 s13, s81, s31
	global_load_dword v2, v38, s[12:13]
	s_waitcnt vmcnt(0)
	v_readfirstlane_b32 s7, v2
	s_sub_i32 s7, s7, s26
	s_cmp_lg_u32 s7, 1
	s_cbranch_scc0 .LBB7_16
; %bb.7:                                ;   in Loop: Header=BB7_4 Depth=1
	s_ashr_i32 s27, s26, 31
	s_lshl_b64 s[50:51], s[26:27], 3
	s_add_u32 s46, s72, s50
	s_addc_u32 s47, s73, s51
	s_add_u32 s12, s74, s50
	s_addc_u32 s13, s75, s51
	global_load_dwordx2 v[4:5], v38, s[12:13]
	global_load_dwordx2 v[10:11], v38, s[46:47]
	s_cmp_lt_i32 s7, 3
	s_waitcnt vmcnt(1)
	v_and_b32_e32 v7, 0x7fffffff, v5
	v_mov_b32_e32 v6, v4
	s_waitcnt vmcnt(0)
	v_add_f64 v[2:3], v[10:11], -|v[4:5]|
	v_add_f64 v[4:5], v[10:11], |v[4:5]|
	s_cbranch_scc1 .LBB7_10
; %bb.8:                                ;   in Loop: Header=BB7_4 Depth=1
	s_add_i32 s27, s7, -2
	s_add_u32 s14, s92, s50
	s_addc_u32 s15, s93, s51
	s_add_u32 s48, s94, s50
	s_addc_u32 s49, s95, s51
.LBB7_9:                                ;   Parent Loop BB7_4 Depth=1
                                        ; =>  This Inner Loop Header: Depth=2
	global_load_dwordx2 v[8:9], v38, s[14:15]
	global_load_dwordx2 v[12:13], v38, s[48:49]
	s_add_i32 s27, s27, -1
	v_pk_mov_b32 v[30:31], v[6:7], v[6:7] op_sel:[0,1]
	s_add_u32 s14, s14, 8
	s_addc_u32 s15, s15, 0
	s_add_u32 s48, s48, 8
	s_addc_u32 s49, s49, 0
	s_cmp_lg_u32 s27, 0
	s_waitcnt vmcnt(1)
	v_add_f64 v[46:47], v[8:9], -v[30:31]
	v_add_f64 v[8:9], v[30:31], v[8:9]
	s_waitcnt vmcnt(0)
	v_add_f64 v[30:31], v[46:47], -|v[12:13]|
	v_add_f64 v[8:9], v[8:9], |v[12:13]|
	v_cmp_lt_f64_e32 vcc, v[30:31], v[2:3]
	v_cmp_lt_f64_e64 s[12:13], v[4:5], v[8:9]
	v_and_b32_e32 v7, 0x7fffffff, v13
	v_mov_b32_e32 v6, v12
	v_cndmask_b32_e32 v3, v3, v31, vcc
	v_cndmask_b32_e64 v5, v5, v9, s[12:13]
	v_cndmask_b32_e32 v2, v2, v30, vcc
	v_cndmask_b32_e64 v4, v4, v8, s[12:13]
	s_cbranch_scc1 .LBB7_9
.LBB7_10:                               ;   in Loop: Header=BB7_4 Depth=1
	s_add_i32 s48, s7, -1
	s_ashr_i32 s49, s48, 31
	s_lshl_b64 s[12:13], s[48:49], 3
	s_add_u32 s12, s46, s12
	s_addc_u32 s13, s47, s13
	global_load_dwordx2 v[8:9], v38, s[12:13]
	v_cvt_f64_i32_e32 v[12:13], s7
	s_andn2_b64 vcc, exec, s[22:23]
	s_waitcnt vmcnt(0)
	v_add_f64 v[30:31], v[8:9], -v[6:7]
	v_add_f64 v[6:7], v[6:7], v[8:9]
	v_cmp_lt_f64_e64 s[12:13], v[30:31], v[2:3]
	v_cmp_lt_f64_e64 s[14:15], v[4:5], v[6:7]
	v_cndmask_b32_e64 v9, v3, v31, s[12:13]
	v_cndmask_b32_e64 v5, v5, v7, s[14:15]
	;; [unrolled: 1-line block ×4, first 2 shown]
	v_cmp_lt_f64_e64 s[12:13], |v[8:9]|, |v[4:5]|
	v_cndmask_b32_e64 v3, v9, v5, s[12:13]
	v_cndmask_b32_e64 v2, v8, v4, s[12:13]
	v_mul_f64 v[2:3], |v[2:3]|, s[40:41]
	v_fma_f64 v[6:7], -v[2:3], v[12:13], v[8:9]
	v_fmac_f64_e32 v[4:5], v[2:3], v[12:13]
	v_add_f64 v[6:7], v[6:7], -s[18:19]
	v_add_f64 v[8:9], s[18:19], v[4:5]
	s_cbranch_vccnz .LBB7_12
; %bb.11:                               ;   in Loop: Header=BB7_4 Depth=1
	global_load_dwordx4 v[46:49], v38, s[16:17]
	s_waitcnt vmcnt(0)
	v_cmp_lt_f64_e32 vcc, v[6:7], v[46:47]
	v_cmp_lt_f64_e64 s[12:13], v[48:49], v[8:9]
	v_cndmask_b32_e32 v7, v7, v47, vcc
	v_cndmask_b32_e64 v9, v9, v49, s[12:13]
	v_cndmask_b32_e32 v6, v6, v46, vcc
	v_cndmask_b32_e64 v8, v8, v48, s[12:13]
.LBB7_12:                               ;   in Loop: Header=BB7_4 Depth=1
	v_cmp_nlt_f64_e32 vcc, v[6:7], v[8:9]
	s_cbranch_vccz .LBB7_17
; %bb.13:                               ;   in Loop: Header=BB7_4 Depth=1
	s_and_saveexec_b64 s[12:13], s[2:3]
	s_cbranch_execz .LBB7_15
; %bb.14:                               ;   in Loop: Header=BB7_4 Depth=1
	s_add_u32 s14, s88, s30
	s_addc_u32 s15, s89, s31
	ds_write_b16 v38, v38 offset:6660
	global_store_dword v38, v38, s[14:15]
.LBB7_15:                               ;   in Loop: Header=BB7_4 Depth=1
	s_or_b64 exec, exec, s[12:13]
	s_mov_b64 s[12:13], 0
	s_branch .LBB7_18
.LBB7_16:                               ;   in Loop: Header=BB7_4 Depth=1
                                        ; implicit-def: $vgpr46
                                        ; implicit-def: $vgpr48
                                        ; implicit-def: $vgpr45
                                        ; implicit-def: $vgpr47
                                        ; implicit-def: $vgpr5
	s_cbranch_execz .LBB7_3
	s_branch .LBB7_93
.LBB7_17:                               ;   in Loop: Header=BB7_4 Depth=1
	s_mov_b64 s[12:13], -1
.LBB7_18:                               ;   in Loop: Header=BB7_4 Depth=1
	s_andn2_b64 vcc, exec, s[12:13]
	v_mov_b32_e32 v5, v44
	v_mov_b32_e32 v47, v43
	;; [unrolled: 1-line block ×4, first 2 shown]
	s_cbranch_vccnz .LBB7_32
; %bb.19:                               ;   in Loop: Header=BB7_4 Depth=1
	v_add_f64 v[4:5], v[8:9], -v[6:7]
	v_add_f64 v[4:5], s[18:19], v[4:5]
	s_mov_b32 s12, 0x55555555
	v_frexp_mant_f64_e32 v[12:13], v[4:5]
	s_mov_b32 s13, 0x3fe55555
	v_cmp_gt_f64_e32 vcc, s[12:13], v[12:13]
	s_and_b64 s[12:13], vcc, exec
	s_cselect_b32 s29, 2.0, 0x3ff00000
	v_frexp_exp_i32_f64_e32 v30, v[4:5]
	v_mul_f64 v[12:13], v[12:13], s[28:29]
	v_subbrev_co_u32_e64 v45, s[12:13], 0, v30, vcc
	v_add_f64 v[30:31], v[12:13], 1.0
	v_rcp_f64_e32 v[46:47], v[30:31]
	v_add_f64 v[50:51], v[30:31], -1.0
	v_add_f64 v[48:49], v[12:13], -1.0
	v_add_f64 v[12:13], v[12:13], -v[50:51]
	v_fma_f64 v[50:51], -v[30:31], v[46:47], 1.0
	v_fmac_f64_e32 v[46:47], v[50:51], v[46:47]
	v_fma_f64 v[50:51], -v[30:31], v[46:47], 1.0
	v_fmac_f64_e32 v[46:47], v[50:51], v[46:47]
	v_mul_f64 v[50:51], v[48:49], v[46:47]
	v_mul_f64 v[52:53], v[30:31], v[50:51]
	v_fma_f64 v[30:31], v[50:51], v[30:31], -v[52:53]
	v_fmac_f64_e32 v[30:31], v[50:51], v[12:13]
	v_add_f64 v[12:13], v[52:53], v[30:31]
	v_add_f64 v[54:55], v[48:49], -v[12:13]
	v_add_f64 v[52:53], v[12:13], -v[52:53]
	;; [unrolled: 1-line block ×5, first 2 shown]
	v_add_f64 v[12:13], v[30:31], v[12:13]
	v_add_f64 v[12:13], v[54:55], v[12:13]
	v_mul_f64 v[12:13], v[46:47], v[12:13]
	v_add_f64 v[30:31], v[50:51], v[12:13]
	v_add_f64 v[46:47], v[30:31], -v[50:51]
	v_add_f64 v[12:13], v[12:13], -v[46:47]
	v_mul_f64 v[46:47], v[30:31], v[30:31]
	v_pk_mov_b32 v[48:49], v[14:15], v[14:15] op_sel:[0,1]
	v_fmac_f64_e32 v[48:49], s[38:39], v[46:47]
	v_pk_mov_b32 v[50:51], v[16:17], v[16:17] op_sel:[0,1]
	v_fmac_f64_e32 v[50:51], v[46:47], v[48:49]
	;; [unrolled: 2-line block ×6, first 2 shown]
	v_ldexp_f64 v[48:49], v[30:31], 1
	v_mul_f64 v[30:31], v[30:31], v[46:47]
	v_mul_f64 v[30:31], v[30:31], v[50:51]
	v_add_f64 v[46:47], v[48:49], v[30:31]
	v_add_f64 v[48:49], v[46:47], -v[48:49]
	v_ldexp_f64 v[12:13], v[12:13], 1
	v_add_f64 v[30:31], v[30:31], -v[48:49]
	v_add_f64 v[12:13], v[12:13], v[30:31]
	v_add_f64 v[30:31], v[46:47], v[12:13]
	v_add_f64 v[46:47], v[30:31], -v[46:47]
	v_add_f64 v[12:13], v[12:13], -v[46:47]
	v_cvt_f64_i32_e32 v[46:47], v45
	v_mul_f64 v[48:49], v[46:47], s[42:43]
	v_fma_f64 v[50:51], v[46:47], s[42:43], -v[48:49]
	v_fmac_f64_e32 v[50:51], s[44:45], v[46:47]
	v_add_f64 v[46:47], v[48:49], v[50:51]
	v_add_f64 v[48:49], v[46:47], -v[48:49]
	v_add_f64 v[48:49], v[50:51], -v[48:49]
	v_add_f64 v[50:51], v[46:47], v[30:31]
	v_add_f64 v[52:53], v[50:51], -v[46:47]
	v_add_f64 v[54:55], v[50:51], -v[52:53]
	;; [unrolled: 1-line block ×4, first 2 shown]
	v_add_f64 v[30:31], v[30:31], v[46:47]
	v_add_f64 v[46:47], v[48:49], v[12:13]
	v_add_f64 v[52:53], v[46:47], -v[48:49]
	v_add_f64 v[54:55], v[46:47], -v[52:53]
	v_add_f64 v[30:31], v[46:47], v[30:31]
	v_add_f64 v[48:49], v[48:49], -v[54:55]
	v_add_f64 v[12:13], v[12:13], -v[52:53]
	v_add_f64 v[46:47], v[50:51], v[30:31]
	v_add_f64 v[12:13], v[12:13], v[48:49]
	v_add_f64 v[48:49], v[46:47], -v[50:51]
	v_add_f64 v[30:31], v[30:31], -v[48:49]
	v_add_f64 v[12:13], v[12:13], v[30:31]
	v_add_f64 v[12:13], v[46:47], v[12:13]
	v_cmp_class_f64_e64 vcc, v[4:5], s34
	v_cndmask_b32_e32 v12, v12, v4, vcc
	v_cndmask_b32_e32 v13, v13, v5, vcc
	v_cmp_ngt_f64_e32 vcc, 0, v[4:5]
	v_cndmask_b32_e32 v13, v1, v13, vcc
	v_cmp_nge_f64_e32 vcc, 0, v[4:5]
	v_cndmask_b32_e32 v12, 0, v12, vcc
	v_cmp_neq_f64_e32 vcc, 0, v[4:5]
	v_cndmask_b32_e32 v13, v32, v13, vcc
	v_add_f64 v[4:5], v[12:13], -v[26:27]
	v_div_scale_f64 v[12:13], s[12:13], s[42:43], s[42:43], v[4:5]
	v_rcp_f64_e32 v[30:31], v[12:13]
	v_mov_b32_e32 v46, 0
	v_mov_b32_e32 v47, 1
	v_fma_f64 v[48:49], -v[12:13], v[30:31], 1.0
	v_fmac_f64_e32 v[30:31], v[30:31], v[48:49]
	v_fma_f64 v[48:49], -v[12:13], v[30:31], 1.0
	v_fmac_f64_e32 v[30:31], v[30:31], v[48:49]
	v_div_scale_f64 v[48:49], vcc, v[4:5], s[42:43], v[4:5]
	v_mul_f64 v[50:51], v[48:49], v[30:31]
	v_fma_f64 v[12:13], -v[12:13], v[50:51], v[48:49]
	s_nop 1
	v_div_fmas_f64 v[12:13], v[12:13], v[30:31], v[50:51]
	v_div_fixup_f64 v[4:5], v[12:13], s[42:43], v[4:5]
	v_cvt_i32_f64_e32 v4, v[4:5]
	v_add_u32_e32 v45, 2, v4
	v_mov_b32_e32 v5, v44
	s_and_saveexec_b64 s[14:15], s[2:3]
	s_cbranch_execz .LBB7_31
; %bb.20:                               ;   in Loop: Header=BB7_4 Depth=1
	s_add_u32 s52, s82, s50
	v_add_f64 v[12:13], v[10:11], -v[6:7]
	s_addc_u32 s53, s83, s51
	s_cmp_gt_i32 s7, 1
	v_cmp_ge_f64_e32 vcc, s[18:19], v[12:13]
	s_cselect_b64 s[54:55], -1, 0
	s_cmp_lt_i32 s7, 2
	v_cndmask_b32_e64 v4, 0, 1, vcc
	ds_write_b8 v38, v38 offset:6661
	s_cbranch_scc1 .LBB7_23
; %bb.21:                               ;   in Loop: Header=BB7_4 Depth=1
	s_xor_b32 s27, s19, 0x80000000
	v_cmp_gt_f64_e64 s[12:13], v[12:13], -s[18:19]
	v_mov_b32_e32 v5, s27
	s_and_b64 vcc, vcc, s[12:13]
	v_cndmask_b32_e32 v13, v13, v5, vcc
	v_mov_b32_e32 v5, s18
	s_add_u32 s56, s92, s50
	v_cndmask_b32_e32 v12, v12, v5, vcc
	s_addc_u32 s57, s93, s51
	s_mov_b64 s[58:59], s[52:53]
	s_mov_b32 s29, s48
.LBB7_22:                               ;   Parent Loop BB7_4 Depth=1
                                        ; =>  This Inner Loop Header: Depth=2
	global_load_dwordx2 v[30:31], v38, s[56:57]
	global_load_dwordx2 v[46:47], v38, s[58:59]
	s_add_i32 s29, s29, -1
	v_mov_b32_e32 v5, s27
	v_mov_b32_e32 v56, s18
	s_waitcnt vmcnt(1)
	v_add_f64 v[30:31], v[30:31], -v[6:7]
	s_waitcnt vmcnt(0)
	v_div_scale_f64 v[48:49], s[12:13], v[12:13], v[12:13], v[46:47]
	v_rcp_f64_e32 v[52:53], v[48:49]
	v_div_scale_f64 v[50:51], vcc, v[46:47], v[12:13], v[46:47]
	v_fma_f64 v[54:55], -v[48:49], v[52:53], 1.0
	v_fmac_f64_e32 v[52:53], v[52:53], v[54:55]
	v_fma_f64 v[54:55], -v[48:49], v[52:53], 1.0
	v_fmac_f64_e32 v[52:53], v[52:53], v[54:55]
	v_mul_f64 v[54:55], v[50:51], v[52:53]
	v_fma_f64 v[48:49], -v[48:49], v[54:55], v[50:51]
	v_div_fmas_f64 v[48:49], v[48:49], v[52:53], v[54:55]
	v_div_fixup_f64 v[12:13], v[48:49], v[12:13], v[46:47]
	v_add_f64 v[12:13], v[30:31], -v[12:13]
	v_cmp_gt_f64_e64 s[60:61], v[12:13], -s[18:19]
	v_cmp_ge_f64_e32 vcc, s[18:19], v[12:13]
	v_addc_co_u32_e64 v4, s[12:13], 0, v4, vcc
	s_and_b64 vcc, vcc, s[60:61]
	s_add_u32 s58, s58, 8
	s_addc_u32 s59, s59, 0
	s_add_u32 s56, s56, 8
	s_addc_u32 s57, s57, 0
	v_cndmask_b32_e32 v13, v13, v5, vcc
	s_cmp_lg_u32 s29, 0
	v_cndmask_b32_e32 v12, v12, v56, vcc
	s_cbranch_scc1 .LBB7_22
.LBB7_23:                               ;   in Loop: Header=BB7_4 Depth=1
	v_add_f64 v[10:11], v[10:11], -v[8:9]
	v_cmp_ge_f64_e64 s[12:13], s[18:19], v[10:11]
	s_andn2_b64 vcc, exec, s[54:55]
	v_cndmask_b32_e64 v5, 0, 1, s[12:13]
	s_cbranch_vccnz .LBB7_26
; %bb.24:                               ;   in Loop: Header=BB7_4 Depth=1
	s_xor_b32 s27, s19, 0x80000000
	v_cmp_gt_f64_e64 s[54:55], v[10:11], -s[18:19]
	v_mov_b32_e32 v12, s27
	s_and_b64 vcc, s[12:13], s[54:55]
	v_cndmask_b32_e32 v11, v11, v12, vcc
	v_mov_b32_e32 v12, s18
	s_add_u32 s54, s92, s50
	v_cndmask_b32_e32 v10, v10, v12, vcc
	s_addc_u32 s55, s93, s51
	s_mov_b32 s29, s48
.LBB7_25:                               ;   Parent Loop BB7_4 Depth=1
                                        ; =>  This Inner Loop Header: Depth=2
	global_load_dwordx2 v[12:13], v38, s[54:55]
	global_load_dwordx2 v[30:31], v38, s[52:53]
	s_add_i32 s29, s29, -1
	v_mov_b32_e32 v54, s27
	v_mov_b32_e32 v55, s18
	s_waitcnt vmcnt(1)
	v_add_f64 v[12:13], v[12:13], -v[8:9]
	s_waitcnt vmcnt(0)
	v_div_scale_f64 v[46:47], s[12:13], v[10:11], v[10:11], v[30:31]
	v_rcp_f64_e32 v[50:51], v[46:47]
	v_div_scale_f64 v[48:49], vcc, v[30:31], v[10:11], v[30:31]
	v_fma_f64 v[52:53], -v[46:47], v[50:51], 1.0
	v_fmac_f64_e32 v[50:51], v[50:51], v[52:53]
	v_fma_f64 v[52:53], -v[46:47], v[50:51], 1.0
	v_fmac_f64_e32 v[50:51], v[50:51], v[52:53]
	v_mul_f64 v[52:53], v[48:49], v[50:51]
	v_fma_f64 v[46:47], -v[46:47], v[52:53], v[48:49]
	v_div_fmas_f64 v[46:47], v[46:47], v[50:51], v[52:53]
	v_div_fixup_f64 v[10:11], v[46:47], v[10:11], v[30:31]
	v_add_f64 v[10:11], v[12:13], -v[10:11]
	v_cmp_gt_f64_e64 s[56:57], v[10:11], -s[18:19]
	v_cmp_ge_f64_e32 vcc, s[18:19], v[10:11]
	v_addc_co_u32_e64 v5, s[12:13], 0, v5, vcc
	s_and_b64 vcc, vcc, s[56:57]
	s_add_u32 s52, s52, 8
	s_addc_u32 s53, s53, 0
	s_add_u32 s54, s54, 8
	s_addc_u32 s55, s55, 0
	v_cndmask_b32_e32 v11, v11, v54, vcc
	s_cmp_lg_u32 s29, 0
	v_cndmask_b32_e32 v10, v10, v55, vcc
	s_cbranch_scc1 .LBB7_25
.LBB7_26:                               ;   in Loop: Header=BB7_4 Depth=1
	v_sub_u32_e32 v10, v5, v4
	v_cmp_gt_i32_e32 vcc, 1, v10
	s_cbranch_vccz .LBB7_28
; %bb.27:                               ;   in Loop: Header=BB7_4 Depth=1
	s_add_u32 s12, s88, s30
	s_addc_u32 s13, s89, s31
	ds_write_b8 v38, v38 offset:6660
	global_store_dword v38, v38, s[12:13]
	s_mov_b32 s27, 1
	s_mov_b32 s29, 0
	s_cbranch_execz .LBB7_29
	s_branch .LBB7_30
.LBB7_28:                               ;   in Loop: Header=BB7_4 Depth=1
                                        ; implicit-def: $sgpr29
                                        ; implicit-def: $sgpr27
.LBB7_29:                               ;   in Loop: Header=BB7_4 Depth=1
	s_add_i32 s12, s26, s37
	s_lshl_b32 s12, s12, 1
	s_ashr_i32 s13, s12, 31
	s_lshl_b64 s[52:53], s[12:13], 3
	s_add_u32 s52, s84, s52
	s_addc_u32 s53, s85, s53
	global_store_dwordx4 v38, v[6:9], s[52:53]
	s_add_u32 s52, s88, s30
	s_addc_u32 s53, s89, s31
	s_lshl_b64 s[12:13], s[12:13], 2
	s_add_u32 s12, s86, s12
	s_mov_b32 s27, 1
	s_addc_u32 s13, s87, s13
	s_mov_b32 s29, 0
	ds_write_b8 v38, v39 offset:6660
	global_store_dword v38, v10, s[52:53]
	global_store_dwordx2 v38, v[4:5], s[12:13]
.LBB7_30:                               ;   in Loop: Header=BB7_4 Depth=1
	v_mov_b32_e32 v46, s29
	v_mov_b32_e32 v47, s27
.LBB7_31:                               ;   in Loop: Header=BB7_4 Depth=1
	s_or_b64 exec, exec, s[14:15]
.LBB7_32:                               ;   in Loop: Header=BB7_4 Depth=1
	s_waitcnt lgkmcnt(0)
	s_barrier
	ds_read_u8 v4, v38 offset:6660
	s_mov_b64 s[54:55], 0
	s_waitcnt lgkmcnt(0)
	v_cmp_eq_u32_e32 vcc, 0, v4
	s_cbranch_vccnz .LBB7_77
; %bb.33:                               ;   in Loop: Header=BB7_4 Depth=1
	ds_read_u8 v4, v38 offset:6661
	v_cmp_lt_i32_e32 vcc, v46, v45
	s_mov_b64 s[54:55], -1
	v_mov_b32_e32 v48, v41
	s_waitcnt lgkmcnt(0)
	v_readfirstlane_b32 s12, v4
	s_bitcmp1_b32 s12, 0
	s_cselect_b64 s[12:13], -1, 0
	s_xor_b64 s[12:13], s[12:13], -1
	s_and_b64 s[12:13], s[12:13], vcc
	s_and_saveexec_b64 s[52:53], s[12:13]
	s_cbranch_execz .LBB7_79
; %bb.34:                               ;   in Loop: Header=BB7_4 Depth=1
	s_add_i32 s12, s26, s37
	s_lshl_b32 s27, s12, 1
	s_cmp_gt_i32 s7, 1
	v_mov_b32_e32 v4, s25
	s_cselect_b64 s[54:55], -1, 0
	v_cndmask_b32_e64 v3, v4, v3, s[0:1]
	v_mov_b32_e32 v4, s24
	s_lshl_b32 s7, s26, 1
	v_cndmask_b32_e64 v2, v4, v2, s[0:1]
	s_add_u32 s56, s82, s50
	v_mov_b32_e32 v4, s19
	v_cmp_gt_f64_e32 vcc, s[18:19], v[2:3]
	s_addc_u32 s57, s83, s51
	v_cndmask_b32_e32 v31, v3, v4, vcc
	v_mov_b32_e32 v3, s18
	s_add_u32 s50, s92, s50
	v_cndmask_b32_e32 v30, v2, v3, vcc
	s_addc_u32 s51, s93, s51
	s_mov_b64 s[58:59], 0
                                        ; implicit-def: $sgpr60_sgpr61
	s_branch .LBB7_37
.LBB7_35:                               ;   in Loop: Header=BB7_37 Depth=2
	s_mov_b64 s[14:15], -1
	s_mov_b64 s[12:13], 0
.LBB7_36:                               ;   in Loop: Header=BB7_37 Depth=2
	s_and_b64 s[14:15], exec, s[14:15]
	s_or_b64 s[58:59], s[14:15], s[58:59]
	s_andn2_b64 s[14:15], s[60:61], exec
	s_and_b64 s[12:13], s[12:13], exec
	s_or_b64 s[60:61], s[14:15], s[12:13]
	s_andn2_b64 exec, exec, s[58:59]
	s_cbranch_execz .LBB7_78
.LBB7_37:                               ;   Parent Loop BB7_4 Depth=1
                                        ; =>  This Loop Header: Depth=2
                                        ;       Child Loop BB7_42 Depth 3
                                        ;         Child Loop BB7_45 Depth 4
                                        ;         Child Loop BB7_59 Depth 4
	;; [unrolled: 1-line block ×3, first 2 shown]
	s_and_saveexec_b64 s[12:13], s[2:3]
	s_cbranch_execz .LBB7_39
; %bb.38:                               ;   in Loop: Header=BB7_37 Depth=2
	ds_write_b32 v38, v38 offset:6656
.LBB7_39:                               ;   in Loop: Header=BB7_37 Depth=2
	s_or_b64 exec, exec, s[12:13]
	v_and_b32_e32 v2, 1, v46
	v_mov_b32_e32 v3, s27
	v_mov_b32_e32 v4, s7
	v_cmp_eq_u32_e32 vcc, 0, v2
	v_cndmask_b32_e32 v48, v3, v4, vcc
	v_cmp_lt_i32_e64 s[12:13], 0, v47
	s_and_saveexec_b64 s[62:63], s[12:13]
	s_cbranch_execz .LBB7_72
; %bb.40:                               ;   in Loop: Header=BB7_37 Depth=2
	v_mov_b32_e32 v2, s7
	v_mov_b32_e32 v3, s27
	v_cndmask_b32_e32 v49, v2, v3, vcc
	s_mov_b32 s29, 0
	s_mov_b64 s[64:65], 0
	s_branch .LBB7_42
.LBB7_41:                               ;   in Loop: Header=BB7_42 Depth=3
	s_or_b64 exec, exec, s[12:13]
	s_addk_i32 s29, 0x80
	v_cmp_ge_i32_e32 vcc, s29, v47
	s_or_b64 s[64:65], vcc, s[64:65]
	s_waitcnt lgkmcnt(0)
	s_barrier
	s_andn2_b64 exec, exec, s[64:65]
	s_cbranch_execz .LBB7_71
.LBB7_42:                               ;   Parent Loop BB7_4 Depth=1
                                        ;     Parent Loop BB7_37 Depth=2
                                        ; =>    This Loop Header: Depth=3
                                        ;         Child Loop BB7_45 Depth 4
                                        ;         Child Loop BB7_59 Depth 4
	;; [unrolled: 1-line block ×3, first 2 shown]
	v_add_u32_e32 v2, s29, v0
	v_cmp_lt_i32_e64 s[12:13], v2, v47
	s_and_saveexec_b64 s[66:67], s[12:13]
	s_cbranch_execz .LBB7_55
; %bb.43:                               ;   in Loop: Header=BB7_42 Depth=3
	v_lshl_add_u32 v2, v2, 1, v49
	v_ashrrev_i32_e32 v3, 31, v2
	v_lshlrev_b64 v[4:5], 3, v[2:3]
	v_mov_b32_e32 v6, s85
	v_add_co_u32_e32 v4, vcc, s84, v4
	v_addc_co_u32_e32 v5, vcc, v6, v5, vcc
	global_load_dwordx4 v[6:9], v[4:5], off
	v_lshlrev_b64 v[4:5], 2, v[2:3]
	global_load_dwordx2 v[2:3], v38, s[46:47]
	v_mov_b32_e32 v10, s87
	v_add_co_u32_e32 v4, vcc, s86, v4
	v_addc_co_u32_e32 v5, vcc, v10, v5, vcc
	global_load_dwordx2 v[4:5], v[4:5], off
	s_andn2_b64 vcc, exec, s[54:55]
	s_waitcnt vmcnt(2)
	v_add_f64 v[12:13], v[6:7], v[8:9]
	v_mul_f64 v[10:11], v[12:13], 0.5
	s_waitcnt vmcnt(1)
	v_fmac_f64_e32 v[2:3], -0.5, v[12:13]
	v_cmp_ge_f64_e64 s[14:15], s[18:19], v[2:3]
	v_cndmask_b32_e64 v12, 0, 1, s[14:15]
	s_cbranch_vccnz .LBB7_46
; %bb.44:                               ;   in Loop: Header=BB7_42 Depth=3
	s_xor_b32 s49, s19, 0x80000000
	v_cmp_gt_f64_e64 s[68:69], v[2:3], -s[18:19]
	v_mov_b32_e32 v13, s49
	s_and_b64 vcc, s[14:15], s[68:69]
	v_cndmask_b32_e32 v3, v3, v13, vcc
	v_mov_b32_e32 v13, s18
	v_cndmask_b32_e32 v2, v2, v13, vcc
	s_mov_b64 s[68:69], s[50:51]
	s_mov_b64 s[70:71], s[56:57]
	s_mov_b32 s35, s48
.LBB7_45:                               ;   Parent Loop BB7_4 Depth=1
                                        ;     Parent Loop BB7_37 Depth=2
                                        ;       Parent Loop BB7_42 Depth=3
                                        ; =>      This Inner Loop Header: Depth=4
	global_load_dwordx2 v[50:51], v38, s[68:69]
	global_load_dwordx2 v[52:53], v38, s[70:71]
	s_add_i32 s35, s35, -1
	v_mov_b32_e32 v13, s49
	v_mov_b32_e32 v62, s18
	s_waitcnt vmcnt(1)
	v_add_f64 v[50:51], v[50:51], -v[10:11]
	s_waitcnt vmcnt(0)
	v_div_scale_f64 v[54:55], s[14:15], v[2:3], v[2:3], v[52:53]
	v_rcp_f64_e32 v[58:59], v[54:55]
	v_div_scale_f64 v[56:57], vcc, v[52:53], v[2:3], v[52:53]
	v_fma_f64 v[60:61], -v[54:55], v[58:59], 1.0
	v_fmac_f64_e32 v[58:59], v[58:59], v[60:61]
	v_fma_f64 v[60:61], -v[54:55], v[58:59], 1.0
	v_fmac_f64_e32 v[58:59], v[58:59], v[60:61]
	v_mul_f64 v[60:61], v[56:57], v[58:59]
	v_fma_f64 v[54:55], -v[54:55], v[60:61], v[56:57]
	v_div_fmas_f64 v[54:55], v[54:55], v[58:59], v[60:61]
	v_div_fixup_f64 v[2:3], v[54:55], v[2:3], v[52:53]
	v_add_f64 v[2:3], v[50:51], -v[2:3]
	v_cmp_gt_f64_e64 s[20:21], v[2:3], -s[18:19]
	v_cmp_ge_f64_e32 vcc, s[18:19], v[2:3]
	v_addc_co_u32_e64 v12, s[14:15], 0, v12, vcc
	s_and_b64 vcc, vcc, s[20:21]
	s_add_u32 s70, s70, 8
	s_addc_u32 s71, s71, 0
	s_add_u32 s68, s68, 8
	s_addc_u32 s69, s69, 0
	v_cndmask_b32_e32 v3, v3, v13, vcc
	s_cmp_lg_u32 s35, 0
	v_cndmask_b32_e32 v2, v2, v62, vcc
	s_cbranch_scc1 .LBB7_45
.LBB7_46:                               ;   in Loop: Header=BB7_42 Depth=3
	s_waitcnt vmcnt(0)
	v_max_i32_e32 v2, v12, v4
	v_min_i32_e32 v3, v2, v5
	v_cmp_ne_u32_e32 vcc, v3, v4
	s_and_saveexec_b64 s[14:15], vcc
	s_xor_b64 s[14:15], exec, s[14:15]
	s_cbranch_execz .LBB7_52
; %bb.47:                               ;   in Loop: Header=BB7_42 Depth=3
	v_cmp_le_i32_e32 vcc, v5, v2
	s_and_saveexec_b64 s[20:21], vcc
	s_xor_b64 s[68:69], exec, s[20:21]
	s_cbranch_execz .LBB7_49
; %bb.48:                               ;   in Loop: Header=BB7_42 Depth=3
	v_mov_b32_e32 v8, v10
	v_mov_b32_e32 v9, v11
	;; [unrolled: 1-line block ×3, first 2 shown]
	ds_write_b32 v34, v38
	ds_write_b128 v35, v[6:9]
	ds_write_b64 v36, v[2:3]
                                        ; implicit-def: $vgpr6_vgpr7
                                        ; implicit-def: $vgpr10_vgpr11
.LBB7_49:                               ;   in Loop: Header=BB7_42 Depth=3
	s_andn2_saveexec_b64 s[68:69], s[68:69]
	s_cbranch_execz .LBB7_51
; %bb.50:                               ;   in Loop: Header=BB7_42 Depth=3
	v_mov_b32_e32 v50, v6
	v_mov_b32_e32 v51, v7
	;; [unrolled: 1-line block ×8, first 2 shown]
	ds_write_b32 v34, v39
	ds_write_b128 v35, v[50:53]
	ds_write_b128 v35, v[10:13] offset:16
	ds_write_b128 v36, v[2:5]
.LBB7_51:                               ;   in Loop: Header=BB7_42 Depth=3
	s_or_b64 exec, exec, s[68:69]
                                        ; implicit-def: $vgpr10_vgpr11
                                        ; implicit-def: $vgpr8_vgpr9
.LBB7_52:                               ;   in Loop: Header=BB7_42 Depth=3
	s_andn2_saveexec_b64 s[14:15], s[14:15]
	s_cbranch_execz .LBB7_54
; %bb.53:                               ;   in Loop: Header=BB7_42 Depth=3
	v_mov_b32_e32 v12, v8
	v_mov_b32_e32 v13, v9
	ds_write_b32 v34, v38
	ds_write_b128 v35, v[10:13]
	ds_write_b64 v36, v[4:5]
.LBB7_54:                               ;   in Loop: Header=BB7_42 Depth=3
	s_or_b64 exec, exec, s[14:15]
.LBB7_55:                               ;   in Loop: Header=BB7_42 Depth=3
	s_or_b64 exec, exec, s[66:67]
	s_waitcnt lgkmcnt(0)
	s_barrier
	s_and_saveexec_b64 s[14:15], s[12:13]
	s_cbranch_execz .LBB7_69
; %bb.56:                               ;   in Loop: Header=BB7_42 Depth=3
	v_mov_b32_e32 v5, 0
	s_and_saveexec_b64 s[12:13], s[4:5]
	s_cbranch_execz .LBB7_66
; %bb.57:                               ;   in Loop: Header=BB7_42 Depth=3
	s_mov_b64 s[68:69], -1
	v_mov_b32_e32 v5, 0
	v_mov_b32_e32 v3, 0
	s_and_saveexec_b64 s[66:67], s[8:9]
	s_cbranch_execz .LBB7_61
; %bb.58:                               ;   in Loop: Header=BB7_42 Depth=3
	s_movk_i32 s35, 0x1800
	s_mov_b64 s[68:69], 0
	v_mov_b32_e32 v2, 0
	v_mov_b32_e32 v3, v37
	;; [unrolled: 1-line block ×5, first 2 shown]
.LBB7_59:                               ;   Parent Loop BB7_4 Depth=1
                                        ;     Parent Loop BB7_37 Depth=2
                                        ;       Parent Loop BB7_42 Depth=3
                                        ; =>      This Inner Loop Header: Depth=4
	v_mov_b32_e32 v7, s35
	ds_read_b128 v[8:11], v7
	v_add_u32_e32 v3, -4, v3
	s_add_i32 s35, s35, 16
	v_cmp_eq_u32_e32 vcc, 0, v3
	s_or_b64 s[68:69], vcc, s[68:69]
	s_waitcnt lgkmcnt(0)
	v_add_u32_e32 v4, v9, v4
	v_add_u32_e32 v2, v8, v2
	;; [unrolled: 1-line block ×4, first 2 shown]
	s_andn2_b64 exec, exec, s[68:69]
	s_cbranch_execnz .LBB7_59
; %bb.60:                               ;   in Loop: Header=BB7_42 Depth=3
	s_or_b64 exec, exec, s[68:69]
	v_add_u32_e32 v3, v6, v4
	v_add3_u32 v5, v5, v2, v3
	s_orn2_b64 s[68:69], s[10:11], exec
	v_mov_b32_e32 v3, v37
.LBB7_61:                               ;   in Loop: Header=BB7_42 Depth=3
	s_or_b64 exec, exec, s[66:67]
	s_and_saveexec_b64 s[66:67], s[68:69]
	s_cbranch_execz .LBB7_65
; %bb.62:                               ;   in Loop: Header=BB7_42 Depth=3
	v_sub_u32_e32 v2, v0, v3
	v_lshl_or_b32 v3, v3, 2, v33
	s_mov_b64 s[68:69], 0
.LBB7_63:                               ;   Parent Loop BB7_4 Depth=1
                                        ;     Parent Loop BB7_37 Depth=2
                                        ;       Parent Loop BB7_42 Depth=3
                                        ; =>      This Inner Loop Header: Depth=4
	ds_read_b32 v4, v3
	v_add_u32_e32 v2, -1, v2
	v_cmp_eq_u32_e32 vcc, 0, v2
	v_add_u32_e32 v3, 4, v3
	s_or_b64 s[68:69], vcc, s[68:69]
	s_waitcnt lgkmcnt(0)
	v_add_u32_e32 v5, v4, v5
	s_andn2_b64 exec, exec, s[68:69]
	s_cbranch_execnz .LBB7_63
; %bb.64:                               ;   in Loop: Header=BB7_42 Depth=3
	s_or_b64 exec, exec, s[68:69]
.LBB7_65:                               ;   in Loop: Header=BB7_42 Depth=3
	s_or_b64 exec, exec, s[66:67]
.LBB7_66:                               ;   in Loop: Header=BB7_42 Depth=3
	s_or_b64 exec, exec, s[12:13]
	ds_read_b32 v2, v38 offset:6656
	ds_read_b64 v[12:13], v36
	ds_read_b128 v[8:11], v35
	ds_read_b32 v50, v34
	v_mov_b32_e32 v4, s85
	s_waitcnt lgkmcnt(3)
	v_add3_u32 v2, v5, v0, v2
	v_lshl_add_u32 v6, v2, 1, v48
	v_ashrrev_i32_e32 v7, 31, v6
	v_lshlrev_b64 v[2:3], 3, v[6:7]
	v_add_co_u32_e32 v2, vcc, s84, v2
	v_addc_co_u32_e32 v3, vcc, v4, v3, vcc
	v_lshlrev_b64 v[6:7], 2, v[6:7]
	v_mov_b32_e32 v4, s87
	v_add_co_u32_e32 v6, vcc, s86, v6
	v_addc_co_u32_e32 v7, vcc, v4, v7, vcc
	s_waitcnt lgkmcnt(0)
	v_cmp_ne_u32_e32 vcc, 0, v50
	global_store_dwordx4 v[2:3], v[8:11], off
	global_store_dwordx2 v[6:7], v[12:13], off
	s_and_saveexec_b64 s[12:13], vcc
	s_cbranch_execz .LBB7_68
; %bb.67:                               ;   in Loop: Header=BB7_42 Depth=3
	ds_read_b128 v[8:11], v35 offset:16
	ds_read_b64 v[12:13], v36 offset:8
	s_waitcnt lgkmcnt(1)
	global_store_dwordx4 v[2:3], v[8:11], off offset:16
	s_waitcnt lgkmcnt(0)
	global_store_dwordx2 v[6:7], v[12:13], off offset:8
.LBB7_68:                               ;   in Loop: Header=BB7_42 Depth=3
	s_or_b64 exec, exec, s[12:13]
.LBB7_69:                               ;   in Loop: Header=BB7_42 Depth=3
	s_or_b64 exec, exec, s[14:15]
	v_subrev_u32_e32 v2, s29, v47
	v_min_i32_e32 v2, 0x80, v2
	v_add_u32_e32 v3, -1, v2
	v_cmp_eq_u32_e32 vcc, v3, v0
	s_barrier
	s_and_saveexec_b64 s[12:13], vcc
	s_cbranch_execz .LBB7_41
; %bb.70:                               ;   in Loop: Header=BB7_42 Depth=3
	ds_read_b32 v3, v34
	ds_read_b32 v4, v38 offset:6656
	v_add_u32_e32 v2, v5, v2
	s_waitcnt lgkmcnt(0)
	v_add3_u32 v2, v2, v3, v4
	ds_write_b32 v38, v2 offset:6656
	s_branch .LBB7_41
.LBB7_71:                               ;   in Loop: Header=BB7_37 Depth=2
	s_or_b64 exec, exec, s[64:65]
.LBB7_72:                               ;   in Loop: Header=BB7_37 Depth=2
	s_or_b64 exec, exec, s[62:63]
	ds_read_b32 v47, v38 offset:6656
	s_and_saveexec_b64 s[12:13], s[2:3]
	s_cbranch_execz .LBB7_75
; %bb.73:                               ;   in Loop: Header=BB7_37 Depth=2
	ds_read_b128 v[6:9], v38
	s_waitcnt lgkmcnt(0)
	v_cmp_lt_f64_e64 vcc, |v[6:7]|, |v[8:9]|
	v_add_f64 v[2:3], v[8:9], -v[6:7]
	v_cndmask_b32_e32 v7, v7, v9, vcc
	v_cndmask_b32_e32 v6, v6, v8, vcc
	v_mul_f64 v[6:7], v[28:29], |v[6:7]|
	v_cmp_lt_f64_e32 vcc, v[30:31], v[6:7]
	v_cndmask_b32_e32 v7, v31, v7, vcc
	v_cndmask_b32_e32 v6, v30, v6, vcc
	v_cmp_nlt_f64_e32 vcc, v[2:3], v[6:7]
	s_cbranch_vccnz .LBB7_75
; %bb.74:                               ;   in Loop: Header=BB7_37 Depth=2
	ds_write_b8 v38, v39 offset:6661
.LBB7_75:                               ;   in Loop: Header=BB7_37 Depth=2
	s_or_b64 exec, exec, s[12:13]
	s_waitcnt lgkmcnt(0)
	s_barrier
	ds_read_u8 v2, v38 offset:6660
	v_add_u32_e32 v46, 1, v46
	s_waitcnt lgkmcnt(0)
	v_readfirstlane_b32 s12, v2
	s_bitcmp1_b32 s12, 0
	s_cselect_b64 s[12:13], -1, 0
	s_and_b64 vcc, exec, s[12:13]
	s_cbranch_vccz .LBB7_35
; %bb.76:                               ;   in Loop: Header=BB7_37 Depth=2
	ds_read_u8 v2, v38 offset:6661
	v_cmp_ge_i32_e32 vcc, v46, v45
	s_waitcnt lgkmcnt(0)
	v_and_b32_e32 v2, 1, v2
	v_cmp_eq_u32_e64 s[12:13], 1, v2
	s_or_b64 s[14:15], s[12:13], vcc
	s_mov_b64 s[12:13], -1
	s_orn2_b64 s[14:15], s[14:15], exec
	s_branch .LBB7_36
.LBB7_77:                               ;   in Loop: Header=BB7_4 Depth=1
	v_mov_b32_e32 v48, v41
	s_and_saveexec_b64 s[12:13], s[2:3]
	s_cbranch_execnz .LBB7_80
	s_branch .LBB7_92
.LBB7_78:                               ;   in Loop: Header=BB7_4 Depth=1
	s_or_b64 exec, exec, s[58:59]
	s_orn2_b64 s[54:55], s[60:61], exec
.LBB7_79:                               ;   in Loop: Header=BB7_4 Depth=1
	s_or_b64 exec, exec, s[52:53]
	s_and_saveexec_b64 s[12:13], s[2:3]
	s_cbranch_execz .LBB7_92
.LBB7_80:                               ;   in Loop: Header=BB7_4 Depth=1
	s_and_saveexec_b64 s[14:15], s[54:55]
	s_cbranch_execz .LBB7_91
; %bb.81:                               ;   in Loop: Header=BB7_4 Depth=1
	ds_read_u8 v2, v38 offset:6661
	v_cmp_lt_i32_e32 vcc, 0, v47
	s_waitcnt lgkmcnt(0)
	v_readfirstlane_b32 s7, v2
	s_bitcmp1_b32 s7, 0
	s_cselect_b64 s[46:47], -1, 0
	s_and_saveexec_b64 s[48:49], vcc
	s_cbranch_execz .LBB7_89
; %bb.82:                               ;   in Loop: Header=BB7_4 Depth=1
	s_add_i32 s7, s6, 1
	s_not_b32 s27, s6
	s_and_b64 s[20:21], s[46:47], exec
	s_cselect_b32 s7, s7, s27
	s_mov_b32 s27, 0
	s_mov_b64 s[50:51], 0
	v_mov_b32_e32 v10, 0
	s_branch .LBB7_84
.LBB7_83:                               ;   in Loop: Header=BB7_84 Depth=2
	s_or_b64 exec, exec, s[52:53]
	s_add_i32 s27, s27, 1
	v_cmp_eq_u32_e32 vcc, s27, v47
	s_or_b64 s[50:51], vcc, s[50:51]
	s_andn2_b64 exec, exec, s[50:51]
	s_cbranch_execz .LBB7_88
.LBB7_84:                               ;   Parent Loop BB7_4 Depth=1
                                        ; =>  This Loop Header: Depth=2
                                        ;       Child Loop BB7_86 Depth 3
	v_lshl_add_u32 v2, s27, 1, v48
	v_ashrrev_i32_e32 v3, 31, v2
	v_lshlrev_b64 v[4:5], 2, v[2:3]
	v_mov_b32_e32 v6, s87
	v_add_co_u32_e32 v4, vcc, s86, v4
	v_addc_co_u32_e32 v5, vcc, v6, v5, vcc
	global_load_dwordx2 v[4:5], v[4:5], off
	s_waitcnt vmcnt(0)
	v_sub_u32_e32 v4, v5, v4
	v_cmp_lt_i32_e32 vcc, 0, v4
	s_and_saveexec_b64 s[52:53], vcc
	s_cbranch_execz .LBB7_83
; %bb.85:                               ;   in Loop: Header=BB7_84 Depth=2
	v_lshlrev_b64 v[2:3], 3, v[2:3]
	v_mov_b32_e32 v6, s85
	v_add_co_u32_e32 v2, vcc, s84, v2
	v_addc_co_u32_e32 v3, vcc, v6, v3, vcc
	global_load_dwordx4 v[50:53], v[2:3], off
	v_add_u32_e32 v2, s26, v10
	v_ashrrev_i32_e32 v3, 31, v2
	v_lshlrev_b64 v[6:7], 3, v[2:3]
	v_mov_b32_e32 v11, s77
	v_lshlrev_b64 v[8:9], 2, v[2:3]
	v_add_co_u32_e32 v2, vcc, s76, v6
	v_addc_co_u32_e32 v3, vcc, v11, v7, vcc
	v_mov_b32_e32 v12, s79
	v_add_co_u32_e32 v6, vcc, s78, v8
	v_addc_co_u32_e32 v7, vcc, v12, v9, vcc
	s_mov_b32 s29, 0
	s_mov_b64 s[54:55], 0
	s_waitcnt vmcnt(0)
	v_add_f64 v[8:9], v[50:51], v[52:53]
	v_mul_f64 v[8:9], v[8:9], 0.5
.LBB7_86:                               ;   Parent Loop BB7_4 Depth=1
                                        ;     Parent Loop BB7_84 Depth=2
                                        ; =>    This Inner Loop Header: Depth=3
	global_store_dwordx2 v[2:3], v[8:9], off
	v_add_co_u32_e32 v2, vcc, 8, v2
	v_mov_b32_e32 v11, s7
	v_addc_co_u32_e32 v3, vcc, 0, v3, vcc
	global_store_dword v[6:7], v11, off
	v_add_co_u32_e32 v6, vcc, 4, v6
	s_add_i32 s29, s29, 1
	v_addc_co_u32_e32 v7, vcc, 0, v7, vcc
	v_cmp_ge_i32_e32 vcc, s29, v4
	s_or_b64 s[54:55], vcc, s[54:55]
	v_add_u32_e32 v11, s29, v10
	s_andn2_b64 exec, exec, s[54:55]
	s_cbranch_execnz .LBB7_86
; %bb.87:                               ;   in Loop: Header=BB7_84 Depth=2
	s_or_b64 exec, exec, s[54:55]
	v_mov_b32_e32 v10, v11
	s_branch .LBB7_83
.LBB7_88:                               ;   in Loop: Header=BB7_4 Depth=1
	s_or_b64 exec, exec, s[50:51]
.LBB7_89:                               ;   in Loop: Header=BB7_4 Depth=1
	s_or_b64 exec, exec, s[48:49]
	s_xor_b64 s[46:47], s[46:47], -1
	s_and_b64 vcc, exec, s[46:47]
	s_cbranch_vccz .LBB7_91
; %bb.90:                               ;   in Loop: Header=BB7_4 Depth=1
	v_readlane_b32 s20, v63, 0
	v_readlane_b32 s21, v63, 1
	s_nop 4
	global_store_dword v38, v39, s[20:21]
.LBB7_91:                               ;   in Loop: Header=BB7_4 Depth=1
	s_or_b64 exec, exec, s[14:15]
.LBB7_92:                               ;   in Loop: Header=BB7_4 Depth=1
	s_or_b64 exec, exec, s[12:13]
	s_branch .LBB7_3
.LBB7_93:                               ;   in Loop: Header=BB7_4 Depth=1
	s_and_saveexec_b64 s[12:13], s[2:3]
	s_cbranch_execz .LBB7_2
; %bb.94:                               ;   in Loop: Header=BB7_4 Depth=1
	s_ashr_i32 s27, s26, 31
	s_lshl_b64 s[14:15], s[26:27], 3
	s_add_u32 s46, s72, s14
	s_addc_u32 s47, s73, s15
	global_load_dwordx2 v[2:3], v38, s[46:47]
	s_andn2_b64 vcc, exec, s[22:23]
	s_cbranch_vccnz .LBB7_98
; %bb.95:                               ;   in Loop: Header=BB7_4 Depth=1
	global_load_dwordx2 v[6:7], v38, s[16:17]
	s_waitcnt vmcnt(1)
	v_add_f64 v[4:5], v[2:3], -s[18:19]
	s_mov_b64 s[46:47], 0
	s_waitcnt vmcnt(0)
	v_cmp_lt_f64_e32 vcc, v[6:7], v[4:5]
	v_cmp_nlt_f64_e64 s[48:49], v[6:7], v[4:5]
	s_cbranch_vccnz .LBB7_99
; %bb.96:                               ;   in Loop: Header=BB7_4 Depth=1
	s_andn2_b64 vcc, exec, s[48:49]
	s_cbranch_vccz .LBB7_100
.LBB7_97:                               ;   in Loop: Header=BB7_4 Depth=1
	s_and_b64 vcc, exec, s[46:47]
	s_cbranch_vccz .LBB7_2
	s_branch .LBB7_101
.LBB7_98:                               ;   in Loop: Header=BB7_4 Depth=1
	s_cbranch_execz .LBB7_2
	s_branch .LBB7_101
.LBB7_99:                               ;   in Loop: Header=BB7_4 Depth=1
	global_load_dwordx2 v[6:7], v38, s[16:17] offset:8
	s_mov_b64 s[46:47], -1
	s_waitcnt vmcnt(0)
	v_cmp_nge_f64_e64 s[48:49], v[6:7], v[4:5]
	s_andn2_b64 vcc, exec, s[48:49]
	s_cbranch_vccnz .LBB7_97
.LBB7_100:                              ;   in Loop: Header=BB7_4 Depth=1
	s_add_u32 s46, s88, s30
	s_addc_u32 s47, s89, s31
	global_store_dword v38, v38, s[46:47]
	s_branch .LBB7_2
.LBB7_101:                              ;   in Loop: Header=BB7_4 Depth=1
	s_add_u32 s14, s76, s14
	s_addc_u32 s15, s77, s15
	s_waitcnt vmcnt(0)
	global_store_dwordx2 v38, v[2:3], s[14:15]
	s_add_u32 s14, s88, s30
	s_addc_u32 s15, s89, s31
	global_store_dword v38, v39, s[14:15]
	s_add_i32 s7, s6, 1
	s_lshl_b64 s[14:15], s[26:27], 2
	s_add_u32 s14, s78, s14
	s_addc_u32 s15, s79, s15
	v_mov_b32_e32 v2, s7
	global_store_dword v38, v2, s[14:15]
	s_branch .LBB7_2
.LBB7_102:
	s_endpgm
	.section	.rodata,"a",@progbits
	.p2align	6, 0x0
	.amdhsa_kernel _ZN9rocsolver6v33100L22stebz_bisection_kernelIdPdEEv15rocblas_erange_iT_T0_iiS5_iiPiPS4_lS6_lS6_lS6_S6_S7_S7_S7_S7_S6_S4_S4_
		.amdhsa_group_segment_fixed_size 6664
		.amdhsa_private_segment_fixed_size 0
		.amdhsa_kernarg_size 176
		.amdhsa_user_sgpr_count 6
		.amdhsa_user_sgpr_private_segment_buffer 1
		.amdhsa_user_sgpr_dispatch_ptr 0
		.amdhsa_user_sgpr_queue_ptr 0
		.amdhsa_user_sgpr_kernarg_segment_ptr 1
		.amdhsa_user_sgpr_dispatch_id 0
		.amdhsa_user_sgpr_flat_scratch_init 0
		.amdhsa_user_sgpr_kernarg_preload_length 0
		.amdhsa_user_sgpr_kernarg_preload_offset 0
		.amdhsa_user_sgpr_private_segment_size 0
		.amdhsa_uses_dynamic_stack 0
		.amdhsa_system_sgpr_private_segment_wavefront_offset 0
		.amdhsa_system_sgpr_workgroup_id_x 1
		.amdhsa_system_sgpr_workgroup_id_y 1
		.amdhsa_system_sgpr_workgroup_id_z 0
		.amdhsa_system_sgpr_workgroup_info 0
		.amdhsa_system_vgpr_workitem_id 0
		.amdhsa_next_free_vgpr 64
		.amdhsa_next_free_sgpr 96
		.amdhsa_accum_offset 64
		.amdhsa_reserve_vcc 1
		.amdhsa_reserve_flat_scratch 0
		.amdhsa_float_round_mode_32 0
		.amdhsa_float_round_mode_16_64 0
		.amdhsa_float_denorm_mode_32 3
		.amdhsa_float_denorm_mode_16_64 3
		.amdhsa_dx10_clamp 1
		.amdhsa_ieee_mode 1
		.amdhsa_fp16_overflow 0
		.amdhsa_tg_split 0
		.amdhsa_exception_fp_ieee_invalid_op 0
		.amdhsa_exception_fp_denorm_src 0
		.amdhsa_exception_fp_ieee_div_zero 0
		.amdhsa_exception_fp_ieee_overflow 0
		.amdhsa_exception_fp_ieee_underflow 0
		.amdhsa_exception_fp_ieee_inexact 0
		.amdhsa_exception_int_div_zero 0
	.end_amdhsa_kernel
	.section	.text._ZN9rocsolver6v33100L22stebz_bisection_kernelIdPdEEv15rocblas_erange_iT_T0_iiS5_iiPiPS4_lS6_lS6_lS6_S6_S7_S7_S7_S7_S6_S4_S4_,"axG",@progbits,_ZN9rocsolver6v33100L22stebz_bisection_kernelIdPdEEv15rocblas_erange_iT_T0_iiS5_iiPiPS4_lS6_lS6_lS6_S6_S7_S7_S7_S7_S6_S4_S4_,comdat
.Lfunc_end7:
	.size	_ZN9rocsolver6v33100L22stebz_bisection_kernelIdPdEEv15rocblas_erange_iT_T0_iiS5_iiPiPS4_lS6_lS6_lS6_S6_S7_S7_S7_S7_S6_S4_S4_, .Lfunc_end7-_ZN9rocsolver6v33100L22stebz_bisection_kernelIdPdEEv15rocblas_erange_iT_T0_iiS5_iiPiPS4_lS6_lS6_lS6_S6_S7_S7_S7_S7_S6_S4_S4_
                                        ; -- End function
	.section	.AMDGPU.csdata,"",@progbits
; Kernel info:
; codeLenInByte = 5844
; NumSgprs: 100
; NumVgprs: 64
; NumAgprs: 0
; TotalNumVgprs: 64
; ScratchSize: 0
; MemoryBound: 0
; FloatMode: 240
; IeeeMode: 1
; LDSByteSize: 6664 bytes/workgroup (compile time only)
; SGPRBlocks: 12
; VGPRBlocks: 7
; NumSGPRsForWavesPerEU: 100
; NumVGPRsForWavesPerEU: 64
; AccumOffset: 64
; Occupancy: 5
; WaveLimiterHint : 1
; COMPUTE_PGM_RSRC2:SCRATCH_EN: 0
; COMPUTE_PGM_RSRC2:USER_SGPR: 6
; COMPUTE_PGM_RSRC2:TRAP_HANDLER: 0
; COMPUTE_PGM_RSRC2:TGID_X_EN: 1
; COMPUTE_PGM_RSRC2:TGID_Y_EN: 1
; COMPUTE_PGM_RSRC2:TGID_Z_EN: 0
; COMPUTE_PGM_RSRC2:TIDIG_COMP_CNT: 0
; COMPUTE_PGM_RSRC3_GFX90A:ACCUM_OFFSET: 15
; COMPUTE_PGM_RSRC3_GFX90A:TG_SPLIT: 0
	.section	.text._ZN9rocsolver6v33100L22stebz_synthesis_kernelIdPdEEv15rocblas_erange_15rocblas_eorder_iiiT0_iiPiS6_PT_lS6_lS6_liS6_S8_S8_S8_S8_S6_S7_,"axG",@progbits,_ZN9rocsolver6v33100L22stebz_synthesis_kernelIdPdEEv15rocblas_erange_15rocblas_eorder_iiiT0_iiPiS6_PT_lS6_lS6_liS6_S8_S8_S8_S8_S6_S7_,comdat
	.globl	_ZN9rocsolver6v33100L22stebz_synthesis_kernelIdPdEEv15rocblas_erange_15rocblas_eorder_iiiT0_iiPiS6_PT_lS6_lS6_liS6_S8_S8_S8_S8_S6_S7_ ; -- Begin function _ZN9rocsolver6v33100L22stebz_synthesis_kernelIdPdEEv15rocblas_erange_15rocblas_eorder_iiiT0_iiPiS6_PT_lS6_lS6_liS6_S8_S8_S8_S8_S6_S7_
	.p2align	8
	.type	_ZN9rocsolver6v33100L22stebz_synthesis_kernelIdPdEEv15rocblas_erange_15rocblas_eorder_iiiT0_iiPiS6_PT_lS6_lS6_liS6_S8_S8_S8_S8_S6_S7_,@function
_ZN9rocsolver6v33100L22stebz_synthesis_kernelIdPdEEv15rocblas_erange_15rocblas_eorder_iiiT0_iiPiS6_PT_lS6_lS6_liS6_S8_S8_S8_S8_S6_S7_: ; @_ZN9rocsolver6v33100L22stebz_synthesis_kernelIdPdEEv15rocblas_erange_15rocblas_eorder_iiiT0_iiPiS6_PT_lS6_lS6_liS6_S8_S8_S8_S8_S6_S7_
; %bb.0:
	s_load_dword s0, s[4:5], 0xb4
	s_load_dword s1, s[4:5], 0x68
	s_waitcnt lgkmcnt(0)
	s_and_b32 s0, s0, 0xffff
	s_mul_i32 s6, s6, s0
	v_add_u32_e32 v4, s6, v0
	v_cmp_gt_i32_e32 vcc, s1, v4
	s_and_saveexec_b64 s[0:1], vcc
	s_cbranch_execz .LBB8_58
; %bb.1:
	s_load_dwordx16 s[8:23], s[4:5], 0x28
	v_ashrrev_i32_e32 v5, 31, v4
	v_lshlrev_b64 v[0:1], 2, v[4:5]
	s_waitcnt lgkmcnt(0)
	v_mov_b32_e32 v3, s11
	v_add_co_u32_e32 v2, vcc, s10, v0
	v_addc_co_u32_e32 v3, vcc, v3, v1, vcc
	global_load_dword v26, v[2:3], off
	v_mul_lo_u32 v11, v4, s15
	v_mul_lo_u32 v12, v5, s14
	v_mad_u64_u32 v[2:3], s[0:1], v4, s14, 0
	v_add3_u32 v3, v3, v11, v12
	v_mul_lo_u32 v13, v4, s19
	v_mul_lo_u32 v15, v5, s18
	v_mad_u64_u32 v[6:7], s[0:1], v4, s18, 0
	v_lshlrev_b64 v[2:3], 3, v[2:3]
	s_load_dwordx4 s[36:39], s[4:5], 0x0
	s_load_dword s33, s[4:5], 0x10
	s_load_dwordx8 s[24:31], s[4:5], 0x70
	v_mov_b32_e32 v14, s13
	v_add3_u32 v7, v7, v13, v15
	v_add_co_u32_e32 v28, vcc, s12, v2
	v_mul_lo_u32 v17, v4, s23
	v_mul_lo_u32 v18, v5, s22
	v_mad_u64_u32 v[8:9], s[0:1], v4, s22, 0
	v_lshlrev_b64 v[12:13], 2, v[6:7]
	v_addc_co_u32_e32 v29, vcc, v14, v3, vcc
	v_mov_b32_e32 v16, s17
	v_add3_u32 v9, v9, v17, v18
	v_add_co_u32_e32 v30, vcc, s16, v12
	s_waitcnt lgkmcnt(0)
	v_mul_lo_u32 v10, v4, s38
	v_lshlrev_b64 v[6:7], 2, v[8:9]
	v_addc_co_u32_e32 v31, vcc, v16, v13, vcc
	v_mov_b32_e32 v19, s21
	v_ashrrev_i32_e32 v11, 31, v10
	v_add_co_u32_e32 v20, vcc, s20, v6
	v_lshlrev_b64 v[8:9], 2, v[10:11]
	v_addc_co_u32_e32 v21, vcc, v19, v7, vcc
	v_mov_b32_e32 v22, s25
	v_add_co_u32_e32 v27, vcc, s24, v8
	v_addc_co_u32_e32 v32, vcc, v22, v9, vcc
	s_cmpk_eq_i32 s36, 0xe9
	s_waitcnt vmcnt(0)
	v_cmp_lt_i32_e32 vcc, 0, v26
	v_cmp_gt_i32_e64 s[0:1], 1, v26
	s_cbranch_scc1 .LBB8_11
; %bb.2:
	v_mov_b32_e32 v10, 0
	s_and_saveexec_b64 s[6:7], vcc
	s_cbranch_execz .LBB8_13
; %bb.3:
	v_add_co_u32_e32 v22, vcc, -4, v20
	v_addc_co_u32_e32 v23, vcc, -1, v21, vcc
	v_mov_b32_e32 v6, s13
	v_add_co_u32_e32 v24, vcc, s12, v2
	v_addc_co_u32_e32 v25, vcc, v6, v3, vcc
	v_mov_b32_e32 v6, s17
	v_add_co_u32_e32 v33, vcc, s16, v12
	s_mov_b32 s15, 0
	v_addc_co_u32_e32 v34, vcc, v6, v13, vcc
	s_mov_b64 s[10:11], 0
	v_mov_b32_e32 v10, 0
	s_mov_b32 s14, s15
	s_branch .LBB8_5
.LBB8_4:                                ;   in Loop: Header=BB8_5 Depth=1
	s_or_b64 exec, exec, s[18:19]
	s_add_i32 s14, s14, 1
	v_cmp_eq_u32_e32 vcc, s14, v26
	s_or_b64 s[10:11], vcc, s[10:11]
	s_andn2_b64 exec, exec, s[10:11]
	s_cbranch_execz .LBB8_12
.LBB8_5:                                ; =>This Loop Header: Depth=1
                                        ;     Child Loop BB8_9 Depth 2
	s_cmp_eq_u32 s14, 0
	s_mov_b64 s[2:3], 0
	v_mov_b32_e32 v14, 0
	s_cbranch_scc1 .LBB8_7
; %bb.6:                                ;   in Loop: Header=BB8_5 Depth=1
	s_lshl_b64 s[2:3], s[14:15], 2
	v_mov_b32_e32 v7, s3
	v_add_co_u32_e32 v6, vcc, s2, v22
	v_addc_co_u32_e32 v7, vcc, v23, v7, vcc
	global_load_dword v14, v[6:7], off
	s_mov_b64 s[2:3], s[14:15]
.LBB8_7:                                ;   in Loop: Header=BB8_5 Depth=1
	s_lshl_b64 s[2:3], s[2:3], 2
	v_mov_b32_e32 v7, s3
	v_add_co_u32_e32 v6, vcc, s2, v27
	v_addc_co_u32_e32 v7, vcc, v32, v7, vcc
	global_load_dword v8, v[6:7], off
	s_waitcnt vmcnt(0)
	v_cmp_lt_i32_e32 vcc, 0, v8
	s_and_saveexec_b64 s[18:19], vcc
	s_cbranch_execz .LBB8_4
; %bb.8:                                ;   in Loop: Header=BB8_5 Depth=1
	v_ashrrev_i32_e32 v15, 31, v14
	v_lshlrev_b64 v[8:9], 3, v[14:15]
	v_add_co_u32_e32 v8, vcc, v24, v8
	v_addc_co_u32_e32 v9, vcc, v25, v9, vcc
	v_lshlrev_b64 v[14:15], 2, v[14:15]
	v_add_co_u32_e32 v14, vcc, v33, v14
	v_ashrrev_i32_e32 v11, 31, v10
	v_addc_co_u32_e32 v15, vcc, v34, v15, vcc
	v_lshlrev_b64 v[16:17], 3, v[10:11]
	v_add_co_u32_e32 v16, vcc, v24, v16
	v_addc_co_u32_e32 v17, vcc, v25, v17, vcc
	v_lshlrev_b64 v[18:19], 2, v[10:11]
	v_add_co_u32_e32 v18, vcc, v33, v18
	v_addc_co_u32_e32 v19, vcc, v34, v19, vcc
	s_mov_b32 s22, 0
	s_mov_b64 s[20:21], 0
.LBB8_9:                                ;   Parent Loop BB8_5 Depth=1
                                        ; =>  This Inner Loop Header: Depth=2
	global_load_dword v11, v[14:15], off
	s_add_i32 s22, s22, 1
	s_waitcnt vmcnt(0)
	global_store_dword v[18:19], v11, off
	global_load_dword v35, v[6:7], off
	global_load_dwordx2 v[36:37], v[8:9], off
	v_add_co_u32_e32 v8, vcc, 8, v8
	v_addc_co_u32_e32 v9, vcc, 0, v9, vcc
	v_add_co_u32_e32 v14, vcc, 4, v14
	v_addc_co_u32_e32 v15, vcc, 0, v15, vcc
	v_add_u32_e32 v11, s22, v10
	s_waitcnt vmcnt(1)
	v_cmp_ge_i32_e64 s[2:3], s22, v35
	s_waitcnt vmcnt(0)
	global_store_dwordx2 v[16:17], v[36:37], off
	v_add_co_u32_e32 v16, vcc, 8, v16
	v_addc_co_u32_e32 v17, vcc, 0, v17, vcc
	v_add_co_u32_e32 v18, vcc, 4, v18
	s_or_b64 s[20:21], s[2:3], s[20:21]
	v_addc_co_u32_e32 v19, vcc, 0, v19, vcc
	s_andn2_b64 exec, exec, s[20:21]
	s_cbranch_execnz .LBB8_9
; %bb.10:                               ;   in Loop: Header=BB8_5 Depth=1
	s_or_b64 exec, exec, s[20:21]
	v_mov_b32_e32 v10, v11
	s_branch .LBB8_4
.LBB8_11:
                                        ; implicit-def: $vgpr10
	s_branch .LBB8_14
.LBB8_12:
	s_or_b64 exec, exec, s[10:11]
.LBB8_13:
	s_or_b64 exec, exec, s[6:7]
	s_cbranch_execnz .LBB8_50
.LBB8_14:
	v_lshlrev_b64 v[6:7], 3, v[4:5]
	v_mov_b32_e32 v5, s27
	v_add_co_u32_e32 v6, vcc, s26, v6
	v_addc_co_u32_e32 v7, vcc, v5, v7, vcc
	global_load_dwordx2 v[6:7], v[6:7], off
	s_load_dwordx4 s[20:23], s[4:5], 0x90
	v_lshlrev_b32_e32 v14, 1, v4
	v_mul_lo_u32 v16, v14, s38
	v_ashrrev_i32_e32 v17, 31, v16
                                        ; implicit-def: $sgpr10
                                        ; implicit-def: $sgpr6_sgpr7
	s_and_saveexec_b64 s[2:3], s[0:1]
	s_xor_b64 s[0:1], exec, s[2:3]
; %bb.15:
	s_ashr_i32 s7, s38, 31
	s_mov_b32 s6, s38
	s_mov_b32 s10, 0
                                        ; implicit-def: $vgpr26
                                        ; implicit-def: $vgpr27
                                        ; implicit-def: $vgpr32
                                        ; implicit-def: $vgpr20
                                        ; implicit-def: $vgpr21
                                        ; implicit-def: $vgpr12_vgpr13
; %bb.16:
	s_or_saveexec_b64 s[2:3], s[0:1]
	v_mov_b32_e32 v8, s10
	v_pk_mov_b32 v[18:19], s[6:7], s[6:7] op_sel:[0,1]
	v_lshlrev_b64 v[10:11], 3, v[16:17]
	v_lshlrev_b64 v[16:17], 2, v[16:17]
	s_xor_b64 exec, exec, s[2:3]
	s_cbranch_execz .LBB8_26
; %bb.17:
	v_add_co_u32_e32 v5, vcc, -4, v20
	v_addc_co_u32_e32 v15, vcc, -1, v21, vcc
	v_mov_b32_e32 v8, s13
	v_add_co_u32_e32 v33, vcc, s12, v2
	v_addc_co_u32_e32 v34, vcc, v8, v3, vcc
	v_mov_b32_e32 v8, s17
	v_add_co_u32_e32 v35, vcc, s16, v12
	v_addc_co_u32_e32 v36, vcc, v8, v13, vcc
	s_waitcnt lgkmcnt(0)
	v_mov_b32_e32 v8, s21
	v_add_co_u32_e32 v37, vcc, s20, v10
	v_addc_co_u32_e32 v38, vcc, v8, v11, vcc
	s_ashr_i32 s7, s38, 31
	s_mov_b32 s6, s38
	v_mov_b32_e32 v8, s23
	v_add_co_u32_e32 v39, vcc, s22, v16
	s_mov_b32 s19, 0
	s_lshl_b64 s[10:11], s[6:7], 3
	v_addc_co_u32_e32 v40, vcc, v8, v17, vcc
	s_mov_b64 s[14:15], 0
	v_mov_b32_e32 v8, 0
	s_mov_b32 s18, s19
	s_branch .LBB8_19
.LBB8_18:                               ;   in Loop: Header=BB8_19 Depth=1
	s_or_b64 exec, exec, s[24:25]
	s_add_i32 s18, s18, 1
	v_cmp_eq_u32_e32 vcc, s18, v26
	s_or_b64 s[14:15], vcc, s[14:15]
	s_andn2_b64 exec, exec, s[14:15]
	s_cbranch_execz .LBB8_25
.LBB8_19:                               ; =>This Loop Header: Depth=1
                                        ;     Child Loop BB8_23 Depth 2
	s_cmp_eq_u32 s18, 0
	s_mov_b64 s[0:1], 0
	v_mov_b32_e32 v20, 0
	s_cbranch_scc1 .LBB8_21
; %bb.20:                               ;   in Loop: Header=BB8_19 Depth=1
	s_lshl_b64 s[0:1], s[18:19], 2
	v_mov_b32_e32 v9, s1
	v_add_co_u32_e32 v12, vcc, s0, v5
	v_addc_co_u32_e32 v13, vcc, v15, v9, vcc
	global_load_dword v20, v[12:13], off
	s_mov_b64 s[0:1], s[18:19]
.LBB8_21:                               ;   in Loop: Header=BB8_19 Depth=1
	s_lshl_b64 s[0:1], s[0:1], 2
	v_mov_b32_e32 v9, s1
	v_add_co_u32_e32 v12, vcc, s0, v27
	v_addc_co_u32_e32 v13, vcc, v32, v9, vcc
	global_load_dword v9, v[12:13], off
	s_waitcnt vmcnt(0)
	v_cmp_lt_i32_e32 vcc, 0, v9
	s_and_saveexec_b64 s[24:25], vcc
	s_cbranch_execz .LBB8_18
; %bb.22:                               ;   in Loop: Header=BB8_19 Depth=1
	v_ashrrev_i32_e32 v21, 31, v20
	v_lshlrev_b64 v[18:19], 3, v[20:21]
	v_add_co_u32_e32 v18, vcc, v33, v18
	v_addc_co_u32_e32 v19, vcc, v34, v19, vcc
	v_lshlrev_b64 v[20:21], 2, v[20:21]
	v_add_co_u32_e32 v20, vcc, v35, v20
	v_ashrrev_i32_e32 v9, 31, v8
	v_addc_co_u32_e32 v21, vcc, v36, v21, vcc
	v_lshlrev_b64 v[22:23], 3, v[8:9]
	v_add_co_u32_e32 v22, vcc, v37, v22
	v_addc_co_u32_e32 v23, vcc, v38, v23, vcc
	v_lshlrev_b64 v[24:25], 2, v[8:9]
	v_add_co_u32_e32 v24, vcc, v39, v24
	v_addc_co_u32_e32 v25, vcc, v40, v25, vcc
	s_mov_b32 s34, 0
	s_mov_b64 s[26:27], 0
.LBB8_23:                               ;   Parent Loop BB8_19 Depth=1
                                        ; =>  This Inner Loop Header: Depth=2
	global_load_dword v9, v[20:21], off
	s_add_i32 s34, s34, 1
	s_waitcnt vmcnt(0)
	global_store_dword v[24:25], v9, off
	global_load_dword v41, v[12:13], off
	global_load_dwordx2 v[42:43], v[18:19], off
	v_add_co_u32_e32 v18, vcc, 8, v18
	v_addc_co_u32_e32 v19, vcc, 0, v19, vcc
	v_add_co_u32_e32 v20, vcc, 4, v20
	v_addc_co_u32_e32 v21, vcc, 0, v21, vcc
	v_mov_b32_e32 v9, s11
	v_add_co_u32_e32 v44, vcc, s10, v22
	v_addc_co_u32_e32 v45, vcc, v23, v9, vcc
	v_add_u32_e32 v9, s34, v8
	s_waitcnt vmcnt(0)
	global_store_dwordx2 v[22:23], v[42:43], off
	global_store_dwordx2 v[44:45], v[42:43], off
	v_add_co_u32_e32 v22, vcc, 8, v22
	v_addc_co_u32_e32 v23, vcc, 0, v23, vcc
	v_add_co_u32_e32 v24, vcc, 4, v24
	v_cmp_ge_i32_e64 s[0:1], s34, v41
	s_or_b64 s[26:27], s[0:1], s[26:27]
	v_addc_co_u32_e32 v25, vcc, 0, v25, vcc
	s_andn2_b64 exec, exec, s[26:27]
	s_cbranch_execnz .LBB8_23
; %bb.24:                               ;   in Loop: Header=BB8_19 Depth=1
	s_or_b64 exec, exec, s[26:27]
	v_mov_b32_e32 v8, v9
	s_branch .LBB8_18
.LBB8_25:
	s_or_b64 exec, exec, s[14:15]
	v_pk_mov_b32 v[18:19], s[6:7], s[6:7] op_sel:[0,1]
.LBB8_26:
	s_or_b64 exec, exec, s[2:3]
	s_waitcnt lgkmcnt(0)
	v_mov_b32_e32 v5, s21
	v_add_co_u32_e32 v9, vcc, s20, v10
	v_addc_co_u32_e32 v32, vcc, v5, v11, vcc
	v_mov_b32_e32 v5, s23
	v_add_co_u32_e32 v33, vcc, s22, v16
	v_addc_co_u32_e32 v34, vcc, v5, v17, vcc
	v_lshlrev_b64 v[16:17], 3, v[18:19]
	v_add_co_u32_e32 v12, vcc, v9, v16
	v_addc_co_u32_e32 v13, vcc, v32, v17, vcc
	s_mov_b32 s2, 1
	v_cmp_lt_i32_e32 vcc, 1, v8
	s_and_saveexec_b64 s[6:7], vcc
	s_cbranch_execz .LBB8_34
; %bb.27:
	v_lshlrev_b64 v[18:19], 2, v[18:19]
	v_add_co_u32_e32 v5, vcc, v33, v18
	v_addc_co_u32_e32 v15, vcc, v34, v19, vcc
	v_add_co_u32_e32 v26, vcc, -8, v12
	v_addc_co_u32_e32 v27, vcc, -1, v13, vcc
	v_add_co_u32_e32 v35, vcc, -4, v5
	v_addc_co_u32_e32 v36, vcc, -1, v15, vcc
	v_add_co_u32_e32 v10, vcc, v16, v10
	v_addc_co_u32_e32 v11, vcc, v17, v11, vcc
	s_cmp_lg_u64 s[22:23], 0
	v_mov_b32_e32 v16, s21
	v_add_co_u32_e32 v10, vcc, s20, v10
	v_addc_co_u32_e32 v11, vcc, v11, v16, vcc
	s_cselect_b64 s[0:1], -1, 0
	v_add_co_u32_e32 v10, vcc, 8, v10
	v_cndmask_b32_e64 v16, 0, 1, s[0:1]
	s_mov_b64 s[10:11], 0
	v_addc_co_u32_e32 v11, vcc, 0, v11, vcc
	v_cmp_ne_u32_e64 s[0:1], 1, v16
	s_branch .LBB8_29
.LBB8_28:                               ;   in Loop: Header=BB8_29 Depth=1
	s_or_b64 exec, exec, s[14:15]
	s_add_i32 s2, s2, 1
	v_cmp_eq_u32_e32 vcc, s2, v8
	s_or_b64 s[10:11], vcc, s[10:11]
	v_add_co_u32_e32 v10, vcc, 8, v10
	v_addc_co_u32_e32 v11, vcc, 0, v11, vcc
	s_andn2_b64 exec, exec, s[10:11]
	s_cbranch_execz .LBB8_34
.LBB8_29:                               ; =>This Loop Header: Depth=1
                                        ;     Child Loop BB8_30 Depth 2
	s_ashr_i32 s3, s2, 31
	s_lshl_b64 s[14:15], s[2:3], 3
	v_mov_b32_e32 v16, s15
	v_add_co_u32_e32 v18, vcc, s14, v26
	v_addc_co_u32_e32 v19, vcc, v27, v16, vcc
	global_load_dwordx2 v[20:21], v[18:19], off
	s_add_i32 s18, s2, -1
	v_mov_b32_e32 v16, s18
	s_mov_b64 s[14:15], 0
	v_pk_mov_b32 v[24:25], v[10:11], v[10:11] op_sel:[0,1]
	s_mov_b32 s19, s2
	s_waitcnt vmcnt(0)
	v_pk_mov_b32 v[22:23], v[20:21], v[20:21] op_sel:[0,1]
.LBB8_30:                               ;   Parent Loop BB8_29 Depth=1
                                        ; =>  This Inner Loop Header: Depth=2
	global_load_dwordx2 v[38:39], v[24:25], off
	v_add_co_u32_e32 v24, vcc, 8, v24
	v_mov_b32_e32 v17, s19
	s_add_i32 s19, s19, 1
	v_addc_co_u32_e32 v25, vcc, 0, v25, vcc
	v_cmp_ge_i32_e32 vcc, s19, v8
	s_or_b64 s[14:15], vcc, s[14:15]
	s_waitcnt vmcnt(0)
	v_cmp_lt_f64_e32 vcc, v[38:39], v[22:23]
	v_cndmask_b32_e32 v23, v23, v39, vcc
	v_cndmask_b32_e32 v22, v22, v38, vcc
	v_cndmask_b32_e32 v16, v16, v17, vcc
	s_andn2_b64 exec, exec, s[14:15]
	s_cbranch_execnz .LBB8_30
; %bb.31:                               ;   in Loop: Header=BB8_29 Depth=1
	s_or_b64 exec, exec, s[14:15]
	v_cmp_ne_u32_e32 vcc, s18, v16
	s_and_saveexec_b64 s[14:15], vcc
	s_cbranch_execz .LBB8_28
; %bb.32:                               ;   in Loop: Header=BB8_29 Depth=1
	v_ashrrev_i32_e32 v17, 31, v16
	v_lshlrev_b64 v[24:25], 3, v[16:17]
	v_add_co_u32_e32 v24, vcc, v12, v24
	v_addc_co_u32_e32 v25, vcc, v13, v25, vcc
	s_and_b64 vcc, exec, s[0:1]
	global_store_dwordx2 v[24:25], v[20:21], off
	global_store_dwordx2 v[18:19], v[22:23], off
	s_cbranch_vccnz .LBB8_28
; %bb.33:                               ;   in Loop: Header=BB8_29 Depth=1
	s_lshl_b64 s[18:19], s[2:3], 2
	v_mov_b32_e32 v19, s19
	v_add_co_u32_e32 v18, vcc, s18, v35
	v_addc_co_u32_e32 v19, vcc, v36, v19, vcc
	v_lshlrev_b64 v[16:17], 2, v[16:17]
	v_add_co_u32_e32 v16, vcc, v5, v16
	v_addc_co_u32_e32 v17, vcc, v15, v17, vcc
	global_load_dword v20, v[18:19], off
	global_load_dword v21, v[16:17], off
	s_waitcnt vmcnt(1)
	global_store_dword v[16:17], v20, off
	s_waitcnt vmcnt(1)
	global_store_dword v[18:19], v21, off
	s_branch .LBB8_28
.LBB8_34:
	s_or_b64 exec, exec, s[6:7]
	s_mov_b32 s11, 0
	v_cmp_lt_i32_e32 vcc, 0, v8
	v_mov_b32_e32 v10, 0
	s_and_saveexec_b64 s[6:7], vcc
	s_cbranch_execz .LBB8_49
; %bb.35:
	s_load_dwordx4 s[0:3], s[4:5], 0x18
	v_ashrrev_i32_e32 v15, 31, v14
	v_add_u32_e32 v37, -1, v8
	s_waitcnt vmcnt(0)
	v_xor_b32_e32 v38, 0x80000000, v7
	s_mov_b32 s10, s11
	s_waitcnt lgkmcnt(0)
	s_ashr_i32 s5, s2, 31
	s_mov_b32 s4, s2
	v_mad_i64_i32 v[10:11], s[2:3], v4, s3, 0
	s_lshl_b64 s[2:3], s[4:5], 3
	s_add_u32 s0, s0, s2
	v_lshlrev_b64 v[10:11], 3, v[10:11]
	s_addc_u32 s1, s1, s3
	s_add_i32 s24, s38, -1
	v_mov_b32_e32 v5, s1
	v_add_co_u32_e32 v16, vcc, s0, v10
	v_mul_lo_u32 v4, v4, s24
	v_addc_co_u32_e32 v17, vcc, v5, v11, vcc
	v_ashrrev_i32_e32 v5, 31, v4
	v_lshlrev_b64 v[4:5], 3, v[4:5]
	v_mov_b32_e32 v10, s29
	v_add_co_u32_e32 v4, vcc, s28, v4
	v_addc_co_u32_e32 v5, vcc, v10, v5, vcc
	v_lshlrev_b64 v[10:11], 3, v[14:15]
	v_mov_b32_e32 v14, s31
	v_add_co_u32_e32 v35, vcc, s30, v10
	s_cmp_gt_i32 s38, 1
	v_addc_co_u32_e32 v36, vcc, v14, v11, vcc
	s_cselect_b64 s[0:1], -1, 0
	v_add_co_u32_e32 v14, vcc, 8, v16
	v_cndmask_b32_e64 v11, 0, 1, s[0:1]
	v_addc_co_u32_e32 v15, vcc, 0, v17, vcc
	s_mov_b64 s[4:5], 0
	v_mov_b32_e32 v10, 0
	v_cmp_ne_u32_e64 s[0:1], 1, v11
	s_branch .LBB8_38
.LBB8_36:                               ;   in Loop: Header=BB8_38 Depth=1
	s_or_b64 exec, exec, s[2:3]
.LBB8_37:                               ;   in Loop: Header=BB8_38 Depth=1
	s_or_b64 exec, exec, s[14:15]
	s_add_i32 s10, s10, 1
	v_cmp_eq_u32_e32 vcc, s10, v8
	s_or_b64 s[4:5], vcc, s[4:5]
	s_andn2_b64 exec, exec, s[4:5]
	s_cbranch_execz .LBB8_48
.LBB8_38:                               ; =>This Loop Header: Depth=1
                                        ;     Child Loop BB8_40 Depth 2
                                        ;     Child Loop BB8_45 Depth 2
	s_lshl_b64 s[2:3], s[10:11], 3
	v_mov_b32_e32 v11, s3
	v_add_co_u32_e32 v18, vcc, s2, v9
	v_addc_co_u32_e32 v19, vcc, v32, v11, vcc
	global_load_dwordx2 v[18:19], v[18:19], off
	s_mov_b32 s25, 0
	s_mov_b64 s[14:15], 0
	v_pk_mov_b32 v[24:25], v[12:13], v[12:13] op_sel:[0,1]
                                        ; implicit-def: $sgpr2_sgpr3
                                        ; implicit-def: $sgpr20_sgpr21
                                        ; implicit-def: $sgpr18_sgpr19
	s_branch .LBB8_40
.LBB8_39:                               ;   in Loop: Header=BB8_40 Depth=2
	s_or_b64 exec, exec, s[22:23]
	s_and_b64 s[22:23], exec, s[20:21]
	s_or_b64 s[14:15], s[22:23], s[14:15]
	s_andn2_b64 s[2:3], s[2:3], exec
	s_and_b64 s[22:23], s[18:19], exec
	v_mov_b32_e32 v11, s25
	s_or_b64 s[2:3], s[2:3], s[22:23]
	s_mov_b32 s25, s26
	s_andn2_b64 exec, exec, s[14:15]
	s_cbranch_execz .LBB8_42
.LBB8_40:                               ;   Parent Loop BB8_38 Depth=1
                                        ; =>  This Inner Loop Header: Depth=2
	global_load_dwordx2 v[20:21], v[24:25], off
	v_pk_mov_b32 v[22:23], v[24:25], v[24:25] op_sel:[0,1]
	s_or_b64 s[18:19], s[18:19], exec
	s_or_b64 s[20:21], s[20:21], exec
                                        ; implicit-def: $sgpr26
                                        ; implicit-def: $vgpr24_vgpr25
	s_waitcnt vmcnt(0)
	v_cmp_neq_f64_e32 vcc, v[18:19], v[20:21]
	s_and_saveexec_b64 s[22:23], vcc
	s_cbranch_execz .LBB8_39
; %bb.41:                               ;   in Loop: Header=BB8_40 Depth=2
	v_add_co_u32_e32 v24, vcc, 8, v22
	s_add_i32 s26, s25, 1
	v_addc_co_u32_e32 v25, vcc, 0, v23, vcc
	v_cmp_eq_u32_e32 vcc, s26, v8
	s_andn2_b64 s[20:21], s[20:21], exec
	s_and_b64 s[28:29], vcc, exec
	s_andn2_b64 s[18:19], s[18:19], exec
	s_or_b64 s[20:21], s[20:21], s[28:29]
	s_branch .LBB8_39
.LBB8_42:                               ;   in Loop: Header=BB8_38 Depth=1
	s_or_b64 exec, exec, s[14:15]
	s_and_saveexec_b64 s[14:15], s[2:3]
	s_xor_b64 s[14:15], exec, s[14:15]
	s_cbranch_execz .LBB8_37
; %bb.43:                               ;   in Loop: Header=BB8_38 Depth=1
	v_cmp_eq_u32_e32 vcc, v11, v37
	v_cndmask_b32_e32 v23, v23, v36, vcc
	v_cndmask_b32_e32 v22, v22, v35, vcc
	global_load_dwordx2 v[24:25], v[22:23], off offset:8
	global_load_dwordx2 v[26:27], v[16:17], off
	s_and_b64 vcc, exec, s[0:1]
	s_waitcnt vmcnt(1)
	v_add_f64 v[20:21], v[24:25], -v[20:21]
	v_fma_f64 v[20:21], 0.5, v[20:21], v[18:19]
	s_waitcnt vmcnt(0)
	v_add_f64 v[22:23], v[26:27], -v[20:21]
	v_cmp_le_f64_e64 s[2:3], v[22:23], v[6:7]
	v_cndmask_b32_e64 v11, 0, 1, s[2:3]
	s_cbranch_vccnz .LBB8_46
; %bb.44:                               ;   in Loop: Header=BB8_38 Depth=1
	v_cmp_gt_f64_e64 s[18:19], v[22:23], -v[6:7]
	s_and_b64 vcc, s[2:3], s[18:19]
	v_cndmask_b32_e32 v27, v23, v38, vcc
	v_cndmask_b32_e32 v26, v22, v6, vcc
	v_pk_mov_b32 v[22:23], v[14:15], v[14:15] op_sel:[0,1]
	v_pk_mov_b32 v[24:25], v[4:5], v[4:5] op_sel:[0,1]
	s_mov_b32 s18, s24
.LBB8_45:                               ;   Parent Loop BB8_38 Depth=1
                                        ; =>  This Inner Loop Header: Depth=2
	global_load_dwordx2 v[40:41], v[24:25], off
	global_load_dwordx2 v[42:43], v[22:23], off
	v_add_co_u32_e32 v24, vcc, 8, v24
	v_addc_co_u32_e32 v25, vcc, 0, v25, vcc
	v_add_co_u32_e32 v22, vcc, 8, v22
	v_addc_co_u32_e32 v23, vcc, 0, v23, vcc
	s_add_i32 s18, s18, -1
	s_waitcnt vmcnt(1)
	v_div_scale_f64 v[44:45], s[2:3], v[26:27], v[26:27], v[40:41]
	v_rcp_f64_e32 v[48:49], v[44:45]
	v_div_scale_f64 v[46:47], vcc, v[40:41], v[26:27], v[40:41]
	s_waitcnt vmcnt(0)
	v_add_f64 v[42:43], v[42:43], -v[20:21]
	v_fma_f64 v[50:51], -v[44:45], v[48:49], 1.0
	v_fmac_f64_e32 v[48:49], v[48:49], v[50:51]
	v_fma_f64 v[50:51], -v[44:45], v[48:49], 1.0
	v_fmac_f64_e32 v[48:49], v[48:49], v[50:51]
	v_mul_f64 v[50:51], v[46:47], v[48:49]
	v_fma_f64 v[44:45], -v[44:45], v[50:51], v[46:47]
	v_div_fmas_f64 v[44:45], v[44:45], v[48:49], v[50:51]
	v_div_fixup_f64 v[26:27], v[44:45], v[26:27], v[40:41]
	v_add_f64 v[26:27], v[42:43], -v[26:27]
	v_cmp_gt_f64_e64 s[20:21], v[26:27], -v[6:7]
	v_cmp_le_f64_e32 vcc, v[26:27], v[6:7]
	v_addc_co_u32_e64 v11, s[2:3], 0, v11, vcc
	s_and_b64 vcc, vcc, s[20:21]
	v_cndmask_b32_e32 v27, v27, v38, vcc
	s_cmp_lg_u32 s18, 0
	v_cndmask_b32_e32 v26, v26, v6, vcc
	s_cbranch_scc1 .LBB8_45
.LBB8_46:                               ;   in Loop: Header=BB8_38 Depth=1
	v_cmp_le_i32_e32 vcc, s39, v11
	v_cmp_ge_i32_e64 s[2:3], s33, v11
	s_and_b64 s[18:19], vcc, s[2:3]
	s_and_saveexec_b64 s[2:3], s[18:19]
	s_cbranch_execz .LBB8_36
; %bb.47:                               ;   in Loop: Header=BB8_38 Depth=1
	s_lshl_b64 s[18:19], s[10:11], 2
	v_mov_b32_e32 v11, s19
	v_add_co_u32_e32 v20, vcc, s18, v33
	v_addc_co_u32_e32 v21, vcc, v34, v11, vcc
	global_load_dword v24, v[20:21], off
	v_ashrrev_i32_e32 v11, 31, v10
	v_lshlrev_b64 v[20:21], 3, v[10:11]
	v_add_co_u32_e32 v20, vcc, v28, v20
	v_addc_co_u32_e32 v21, vcc, v29, v21, vcc
	v_lshlrev_b64 v[22:23], 2, v[10:11]
	v_add_co_u32_e32 v22, vcc, v30, v22
	v_add_u32_e32 v10, 1, v10
	v_addc_co_u32_e32 v23, vcc, v31, v23, vcc
	global_store_dwordx2 v[20:21], v[18:19], off
	s_waitcnt vmcnt(1)
	global_store_dword v[22:23], v24, off
	s_branch .LBB8_36
.LBB8_48:
	s_or_b64 exec, exec, s[4:5]
.LBB8_49:
	s_or_b64 exec, exec, s[6:7]
.LBB8_50:
	v_mov_b32_e32 v4, s9
	v_add_co_u32_e32 v0, vcc, s8, v0
	v_addc_co_u32_e32 v1, vcc, v4, v1, vcc
	s_cmpk_eq_i32 s37, 0xf2
	s_cselect_b64 s[0:1], -1, 0
	v_cmp_lt_i32_e32 vcc, 1, v10
	s_mov_b32 s2, 1
	s_and_b64 s[0:1], s[0:1], vcc
	global_store_dword v[0:1], v10, off
	s_and_b64 exec, exec, s[0:1]
	s_cbranch_execz .LBB8_58
; %bb.51:
	v_add_co_u32_e32 v11, vcc, -8, v28
	v_addc_co_u32_e32 v14, vcc, -1, v29, vcc
	v_add_co_u32_e32 v15, vcc, -4, v30
	v_addc_co_u32_e32 v16, vcc, -1, v31, vcc
	v_mov_b32_e32 v0, s13
	v_add_co_u32_e32 v1, vcc, s12, v2
	s_cmp_lg_u64 s[16:17], 0
	v_addc_co_u32_e32 v2, vcc, v3, v0, vcc
	v_add_co_u32_e32 v0, vcc, 8, v1
	s_cselect_b64 s[0:1], -1, 0
	v_addc_co_u32_e32 v1, vcc, 0, v2, vcc
	v_cndmask_b32_e64 v2, 0, 1, s[0:1]
	s_mov_b64 s[4:5], 0
	v_cmp_ne_u32_e64 s[0:1], 1, v2
	s_branch .LBB8_53
.LBB8_52:                               ;   in Loop: Header=BB8_53 Depth=1
	s_or_b64 exec, exec, s[6:7]
	s_add_i32 s2, s2, 1
	v_cmp_eq_u32_e32 vcc, s2, v10
	s_or_b64 s[4:5], vcc, s[4:5]
	v_add_co_u32_e32 v0, vcc, 8, v0
	v_addc_co_u32_e32 v1, vcc, 0, v1, vcc
	s_andn2_b64 exec, exec, s[4:5]
	s_cbranch_execz .LBB8_58
.LBB8_53:                               ; =>This Loop Header: Depth=1
                                        ;     Child Loop BB8_54 Depth 2
	s_ashr_i32 s3, s2, 31
	s_lshl_b64 s[6:7], s[2:3], 3
	v_mov_b32_e32 v2, s7
	v_add_co_u32_e32 v4, vcc, s6, v11
	v_addc_co_u32_e32 v5, vcc, v14, v2, vcc
	global_load_dwordx2 v[6:7], v[4:5], off
	s_add_i32 s8, s2, -1
	v_mov_b32_e32 v2, s8
	s_mov_b64 s[6:7], 0
	v_pk_mov_b32 v[12:13], v[0:1], v[0:1] op_sel:[0,1]
	s_mov_b32 s9, s2
	s_waitcnt vmcnt(0)
	v_pk_mov_b32 v[8:9], v[6:7], v[6:7] op_sel:[0,1]
.LBB8_54:                               ;   Parent Loop BB8_53 Depth=1
                                        ; =>  This Inner Loop Header: Depth=2
	global_load_dwordx2 v[18:19], v[12:13], off
	v_add_co_u32_e32 v12, vcc, 8, v12
	v_mov_b32_e32 v3, s9
	s_add_i32 s9, s9, 1
	v_addc_co_u32_e32 v13, vcc, 0, v13, vcc
	v_cmp_ge_i32_e32 vcc, s9, v10
	s_or_b64 s[6:7], vcc, s[6:7]
	s_waitcnt vmcnt(0)
	v_cmp_lt_f64_e32 vcc, v[18:19], v[8:9]
	v_cndmask_b32_e32 v9, v9, v19, vcc
	v_cndmask_b32_e32 v8, v8, v18, vcc
	v_cndmask_b32_e32 v2, v2, v3, vcc
	s_andn2_b64 exec, exec, s[6:7]
	s_cbranch_execnz .LBB8_54
; %bb.55:                               ;   in Loop: Header=BB8_53 Depth=1
	s_or_b64 exec, exec, s[6:7]
	v_cmp_ne_u32_e32 vcc, s8, v2
	s_and_saveexec_b64 s[6:7], vcc
	s_cbranch_execz .LBB8_52
; %bb.56:                               ;   in Loop: Header=BB8_53 Depth=1
	v_ashrrev_i32_e32 v3, 31, v2
	v_lshlrev_b64 v[12:13], 3, v[2:3]
	v_add_co_u32_e32 v12, vcc, v28, v12
	v_addc_co_u32_e32 v13, vcc, v29, v13, vcc
	s_and_b64 vcc, exec, s[0:1]
	global_store_dwordx2 v[12:13], v[6:7], off
	global_store_dwordx2 v[4:5], v[8:9], off
	s_cbranch_vccnz .LBB8_52
; %bb.57:                               ;   in Loop: Header=BB8_53 Depth=1
	s_lshl_b64 s[8:9], s[2:3], 2
	v_mov_b32_e32 v5, s9
	v_add_co_u32_e32 v4, vcc, s8, v15
	v_addc_co_u32_e32 v5, vcc, v16, v5, vcc
	v_lshlrev_b64 v[2:3], 2, v[2:3]
	v_add_co_u32_e32 v2, vcc, v30, v2
	v_addc_co_u32_e32 v3, vcc, v31, v3, vcc
	global_load_dword v6, v[4:5], off
	global_load_dword v7, v[2:3], off
	s_waitcnt vmcnt(1)
	global_store_dword v[2:3], v6, off
	s_waitcnt vmcnt(1)
	global_store_dword v[4:5], v7, off
	s_branch .LBB8_52
.LBB8_58:
	s_endpgm
	.section	.rodata,"a",@progbits
	.p2align	6, 0x0
	.amdhsa_kernel _ZN9rocsolver6v33100L22stebz_synthesis_kernelIdPdEEv15rocblas_erange_15rocblas_eorder_iiiT0_iiPiS6_PT_lS6_lS6_liS6_S8_S8_S8_S8_S6_S7_
		.amdhsa_group_segment_fixed_size 0
		.amdhsa_private_segment_fixed_size 0
		.amdhsa_kernarg_size 424
		.amdhsa_user_sgpr_count 6
		.amdhsa_user_sgpr_private_segment_buffer 1
		.amdhsa_user_sgpr_dispatch_ptr 0
		.amdhsa_user_sgpr_queue_ptr 0
		.amdhsa_user_sgpr_kernarg_segment_ptr 1
		.amdhsa_user_sgpr_dispatch_id 0
		.amdhsa_user_sgpr_flat_scratch_init 0
		.amdhsa_user_sgpr_kernarg_preload_length 0
		.amdhsa_user_sgpr_kernarg_preload_offset 0
		.amdhsa_user_sgpr_private_segment_size 0
		.amdhsa_uses_dynamic_stack 0
		.amdhsa_system_sgpr_private_segment_wavefront_offset 0
		.amdhsa_system_sgpr_workgroup_id_x 1
		.amdhsa_system_sgpr_workgroup_id_y 0
		.amdhsa_system_sgpr_workgroup_id_z 0
		.amdhsa_system_sgpr_workgroup_info 0
		.amdhsa_system_vgpr_workitem_id 0
		.amdhsa_next_free_vgpr 52
		.amdhsa_next_free_sgpr 40
		.amdhsa_accum_offset 52
		.amdhsa_reserve_vcc 1
		.amdhsa_reserve_flat_scratch 0
		.amdhsa_float_round_mode_32 0
		.amdhsa_float_round_mode_16_64 0
		.amdhsa_float_denorm_mode_32 3
		.amdhsa_float_denorm_mode_16_64 3
		.amdhsa_dx10_clamp 1
		.amdhsa_ieee_mode 1
		.amdhsa_fp16_overflow 0
		.amdhsa_tg_split 0
		.amdhsa_exception_fp_ieee_invalid_op 0
		.amdhsa_exception_fp_denorm_src 0
		.amdhsa_exception_fp_ieee_div_zero 0
		.amdhsa_exception_fp_ieee_overflow 0
		.amdhsa_exception_fp_ieee_underflow 0
		.amdhsa_exception_fp_ieee_inexact 0
		.amdhsa_exception_int_div_zero 0
	.end_amdhsa_kernel
	.section	.text._ZN9rocsolver6v33100L22stebz_synthesis_kernelIdPdEEv15rocblas_erange_15rocblas_eorder_iiiT0_iiPiS6_PT_lS6_lS6_liS6_S8_S8_S8_S8_S6_S7_,"axG",@progbits,_ZN9rocsolver6v33100L22stebz_synthesis_kernelIdPdEEv15rocblas_erange_15rocblas_eorder_iiiT0_iiPiS6_PT_lS6_lS6_liS6_S8_S8_S8_S8_S6_S7_,comdat
.Lfunc_end8:
	.size	_ZN9rocsolver6v33100L22stebz_synthesis_kernelIdPdEEv15rocblas_erange_15rocblas_eorder_iiiT0_iiPiS6_PT_lS6_lS6_liS6_S8_S8_S8_S8_S6_S7_, .Lfunc_end8-_ZN9rocsolver6v33100L22stebz_synthesis_kernelIdPdEEv15rocblas_erange_15rocblas_eorder_iiiT0_iiPiS6_PT_lS6_lS6_liS6_S8_S8_S8_S8_S6_S7_
                                        ; -- End function
	.section	.AMDGPU.csdata,"",@progbits
; Kernel info:
; codeLenInByte = 2960
; NumSgprs: 44
; NumVgprs: 52
; NumAgprs: 0
; TotalNumVgprs: 52
; ScratchSize: 0
; MemoryBound: 0
; FloatMode: 240
; IeeeMode: 1
; LDSByteSize: 0 bytes/workgroup (compile time only)
; SGPRBlocks: 5
; VGPRBlocks: 6
; NumSGPRsForWavesPerEU: 44
; NumVGPRsForWavesPerEU: 52
; AccumOffset: 52
; Occupancy: 8
; WaveLimiterHint : 1
; COMPUTE_PGM_RSRC2:SCRATCH_EN: 0
; COMPUTE_PGM_RSRC2:USER_SGPR: 6
; COMPUTE_PGM_RSRC2:TRAP_HANDLER: 0
; COMPUTE_PGM_RSRC2:TGID_X_EN: 1
; COMPUTE_PGM_RSRC2:TGID_Y_EN: 0
; COMPUTE_PGM_RSRC2:TGID_Z_EN: 0
; COMPUTE_PGM_RSRC2:TIDIG_COMP_CNT: 0
; COMPUTE_PGM_RSRC3_GFX90A:ACCUM_OFFSET: 12
; COMPUTE_PGM_RSRC3_GFX90A:TG_SPLIT: 0
	.text
	.p2alignl 6, 3212836864
	.fill 256, 4, 3212836864
	.type	__hip_cuid_6bb48b82677ea80e,@object ; @__hip_cuid_6bb48b82677ea80e
	.section	.bss,"aw",@nobits
	.globl	__hip_cuid_6bb48b82677ea80e
__hip_cuid_6bb48b82677ea80e:
	.byte	0                               ; 0x0
	.size	__hip_cuid_6bb48b82677ea80e, 1

	.ident	"AMD clang version 19.0.0git (https://github.com/RadeonOpenCompute/llvm-project roc-6.4.0 25133 c7fe45cf4b819c5991fe208aaa96edf142730f1d)"
	.section	".note.GNU-stack","",@progbits
	.addrsig
	.addrsig_sym __hip_cuid_6bb48b82677ea80e
	.amdgpu_metadata
---
amdhsa.kernels:
  - .agpr_count:     0
    .args:
      - .address_space:  global
        .offset:         0
        .size:           8
        .value_kind:     global_buffer
      - .offset:         8
        .size:           4
        .value_kind:     by_value
      - .offset:         12
        .size:           4
        .value_kind:     by_value
      - .offset:         16
        .size:           4
        .value_kind:     by_value
      - .offset:         24
        .size:           4
        .value_kind:     hidden_block_count_x
      - .offset:         28
        .size:           4
        .value_kind:     hidden_block_count_y
      - .offset:         32
        .size:           4
        .value_kind:     hidden_block_count_z
      - .offset:         36
        .size:           2
        .value_kind:     hidden_group_size_x
      - .offset:         38
        .size:           2
        .value_kind:     hidden_group_size_y
      - .offset:         40
        .size:           2
        .value_kind:     hidden_group_size_z
      - .offset:         42
        .size:           2
        .value_kind:     hidden_remainder_x
      - .offset:         44
        .size:           2
        .value_kind:     hidden_remainder_y
      - .offset:         46
        .size:           2
        .value_kind:     hidden_remainder_z
      - .offset:         64
        .size:           8
        .value_kind:     hidden_global_offset_x
      - .offset:         72
        .size:           8
        .value_kind:     hidden_global_offset_y
      - .offset:         80
        .size:           8
        .value_kind:     hidden_global_offset_z
      - .offset:         88
        .size:           2
        .value_kind:     hidden_grid_dims
    .group_segment_fixed_size: 0
    .kernarg_segment_align: 8
    .kernarg_segment_size: 280
    .language:       OpenCL C
    .language_version:
      - 2
      - 0
    .max_flat_workgroup_size: 1024
    .name:           _ZN9rocsolver6v33100L10reset_infoIiiiEEvPT_T0_T1_S4_
    .private_segment_fixed_size: 0
    .sgpr_count:     12
    .sgpr_spill_count: 0
    .symbol:         _ZN9rocsolver6v33100L10reset_infoIiiiEEvPT_T0_T1_S4_.kd
    .uniform_work_group_size: 1
    .uses_dynamic_stack: false
    .vgpr_count:     4
    .vgpr_spill_count: 0
    .wavefront_size: 64
  - .agpr_count:     0
    .args:
      - .offset:         0
        .size:           4
        .value_kind:     by_value
      - .offset:         4
        .size:           4
        .value_kind:     by_value
      - .offset:         8
        .size:           4
        .value_kind:     by_value
      - .address_space:  global
        .offset:         16
        .size:           8
        .value_kind:     global_buffer
      - .offset:         24
        .size:           4
        .value_kind:     by_value
      - .offset:         32
        .size:           8
        .value_kind:     by_value
      - .address_space:  global
        .offset:         40
        .size:           8
        .value_kind:     global_buffer
      - .address_space:  global
        .offset:         48
        .size:           8
        .value_kind:     global_buffer
      - .address_space:  global
        .offset:         56
        .size:           8
        .value_kind:     global_buffer
      - .offset:         64
        .size:           8
        .value_kind:     by_value
      - .address_space:  global
        .offset:         72
        .size:           8
        .value_kind:     global_buffer
      - .offset:         80
        .size:           8
        .value_kind:     by_value
      - .address_space:  global
        .offset:         88
        .size:           8
        .value_kind:     global_buffer
      - .offset:         96
        .size:           8
        .value_kind:     by_value
      - .offset:         104
        .size:           4
        .value_kind:     by_value
      - .offset:         112
        .size:           4
        .value_kind:     hidden_block_count_x
      - .offset:         116
        .size:           4
        .value_kind:     hidden_block_count_y
      - .offset:         120
        .size:           4
        .value_kind:     hidden_block_count_z
      - .offset:         124
        .size:           2
        .value_kind:     hidden_group_size_x
      - .offset:         126
        .size:           2
        .value_kind:     hidden_group_size_y
      - .offset:         128
        .size:           2
        .value_kind:     hidden_group_size_z
      - .offset:         130
        .size:           2
        .value_kind:     hidden_remainder_x
      - .offset:         132
        .size:           2
        .value_kind:     hidden_remainder_y
      - .offset:         134
        .size:           2
        .value_kind:     hidden_remainder_z
      - .offset:         152
        .size:           8
        .value_kind:     hidden_global_offset_x
      - .offset:         160
        .size:           8
        .value_kind:     hidden_global_offset_y
      - .offset:         168
        .size:           8
        .value_kind:     hidden_global_offset_z
      - .offset:         176
        .size:           2
        .value_kind:     hidden_grid_dims
    .group_segment_fixed_size: 0
    .kernarg_segment_align: 8
    .kernarg_segment_size: 368
    .language:       OpenCL C
    .language_version:
      - 2
      - 0
    .max_flat_workgroup_size: 1024
    .name:           _ZN9rocsolver6v33100L18stebz_case1_kernelIfPfEEv15rocblas_erange_T_S4_T0_ilPiS6_PS4_lS6_lS6_li
    .private_segment_fixed_size: 0
    .sgpr_count:     28
    .sgpr_spill_count: 0
    .symbol:         _ZN9rocsolver6v33100L18stebz_case1_kernelIfPfEEv15rocblas_erange_T_S4_T0_ilPiS6_PS4_lS6_lS6_li.kd
    .uniform_work_group_size: 1
    .uses_dynamic_stack: false
    .vgpr_count:     10
    .vgpr_spill_count: 0
    .wavefront_size: 64
  - .agpr_count:     0
    .args:
      - .offset:         0
        .size:           4
        .value_kind:     by_value
      - .offset:         4
        .size:           4
        .value_kind:     by_value
      - .offset:         8
        .size:           4
        .value_kind:     by_value
      - .offset:         12
        .size:           4
        .value_kind:     by_value
      - .offset:         16
        .size:           4
        .value_kind:     by_value
      - .offset:         20
        .size:           4
        .value_kind:     by_value
      - .address_space:  global
        .offset:         24
        .size:           8
        .value_kind:     global_buffer
      - .offset:         32
        .size:           4
        .value_kind:     by_value
      - .offset:         36
        .size:           4
        .value_kind:     by_value
      - .address_space:  global
        .offset:         40
        .size:           8
        .value_kind:     global_buffer
      - .offset:         48
        .size:           4
        .value_kind:     by_value
      - .offset:         52
        .size:           4
        .value_kind:     by_value
      - .address_space:  global
        .offset:         56
        .size:           8
        .value_kind:     global_buffer
      - .address_space:  global
        .offset:         64
        .size:           8
        .value_kind:     global_buffer
      - .offset:         72
        .size:           8
        .value_kind:     by_value
      - .address_space:  global
        .offset:         80
        .size:           8
        .value_kind:     global_buffer
      - .offset:         88
        .size:           8
        .value_kind:     by_value
      - .address_space:  global
        .offset:         96
        .size:           8
        .value_kind:     global_buffer
      - .address_space:  global
        .offset:         104
        .size:           8
        .value_kind:     global_buffer
      - .address_space:  global
        .offset:         112
        .size:           8
        .value_kind:     global_buffer
      - .address_space:  global
        .offset:         120
        .size:           8
        .value_kind:     global_buffer
      - .address_space:  global
        .offset:         128
        .size:           8
        .value_kind:     global_buffer
      - .address_space:  global
        .offset:         136
        .size:           8
        .value_kind:     global_buffer
      - .offset:         144
        .size:           4
        .value_kind:     by_value
      - .offset:         148
        .size:           4
        .value_kind:     by_value
    .group_segment_fixed_size: 2048
    .kernarg_segment_align: 8
    .kernarg_segment_size: 152
    .language:       OpenCL C
    .language_version:
      - 2
      - 0
    .max_flat_workgroup_size: 256
    .name:           _ZN9rocsolver6v33100L22stebz_splitting_kernelIfPfEEv15rocblas_erange_iT_S4_iiT0_iiS5_iiPiPS4_lS6_lS6_S7_S7_S7_S7_S6_S4_S4_
    .private_segment_fixed_size: 0
    .sgpr_count:     62
    .sgpr_spill_count: 0
    .symbol:         _ZN9rocsolver6v33100L22stebz_splitting_kernelIfPfEEv15rocblas_erange_iT_S4_iiT0_iiS5_iiPiPS4_lS6_lS6_S7_S7_S7_S7_S6_S4_S4_.kd
    .uniform_work_group_size: 1
    .uses_dynamic_stack: false
    .vgpr_count:     46
    .vgpr_spill_count: 0
    .wavefront_size: 64
  - .agpr_count:     0
    .args:
      - .offset:         0
        .size:           4
        .value_kind:     by_value
      - .offset:         4
        .size:           4
        .value_kind:     by_value
      - .offset:         8
        .size:           4
        .value_kind:     by_value
      - .address_space:  global
        .offset:         16
        .size:           8
        .value_kind:     global_buffer
      - .offset:         24
        .size:           4
        .value_kind:     by_value
      - .offset:         28
        .size:           4
        .value_kind:     by_value
      - .address_space:  global
        .offset:         32
        .size:           8
        .value_kind:     global_buffer
      - .offset:         40
        .size:           4
        .value_kind:     by_value
      - .offset:         44
        .size:           4
        .value_kind:     by_value
      - .address_space:  global
        .offset:         48
        .size:           8
        .value_kind:     global_buffer
      - .address_space:  global
        .offset:         56
        .size:           8
        .value_kind:     global_buffer
      - .offset:         64
        .size:           8
        .value_kind:     by_value
      - .address_space:  global
        .offset:         72
        .size:           8
        .value_kind:     global_buffer
      - .offset:         80
        .size:           8
        .value_kind:     by_value
      - .address_space:  global
        .offset:         88
        .size:           8
        .value_kind:     global_buffer
      - .offset:         96
        .size:           8
        .value_kind:     by_value
      - .address_space:  global
        .offset:         104
        .size:           8
        .value_kind:     global_buffer
      - .address_space:  global
        .offset:         112
        .size:           8
        .value_kind:     global_buffer
      - .address_space:  global
        .offset:         120
        .size:           8
        .value_kind:     global_buffer
      - .address_space:  global
        .offset:         128
        .size:           8
        .value_kind:     global_buffer
      - .address_space:  global
        .offset:         136
        .size:           8
        .value_kind:     global_buffer
      - .address_space:  global
        .offset:         144
        .size:           8
        .value_kind:     global_buffer
      - .address_space:  global
        .offset:         152
        .size:           8
        .value_kind:     global_buffer
      - .offset:         160
        .size:           4
        .value_kind:     by_value
      - .offset:         164
        .size:           4
        .value_kind:     by_value
    .group_segment_fixed_size: 4616
    .kernarg_segment_align: 8
    .kernarg_segment_size: 168
    .language:       OpenCL C
    .language_version:
      - 2
      - 0
    .max_flat_workgroup_size: 128
    .name:           _ZN9rocsolver6v33100L22stebz_bisection_kernelIfPfEEv15rocblas_erange_iT_T0_iiS5_iiPiPS4_lS6_lS6_lS6_S6_S7_S7_S7_S7_S6_S4_S4_
    .private_segment_fixed_size: 0
    .sgpr_count:     96
    .sgpr_spill_count: 0
    .symbol:         _ZN9rocsolver6v33100L22stebz_bisection_kernelIfPfEEv15rocblas_erange_iT_T0_iiS5_iiPiPS4_lS6_lS6_lS6_S6_S7_S7_S7_S7_S6_S4_S4_.kd
    .uniform_work_group_size: 1
    .uses_dynamic_stack: false
    .vgpr_count:     38
    .vgpr_spill_count: 0
    .wavefront_size: 64
  - .agpr_count:     0
    .args:
      - .offset:         0
        .size:           4
        .value_kind:     by_value
      - .offset:         4
        .size:           4
        .value_kind:     by_value
      - .offset:         8
        .size:           4
        .value_kind:     by_value
      - .offset:         12
        .size:           4
        .value_kind:     by_value
      - .offset:         16
        .size:           4
        .value_kind:     by_value
      - .address_space:  global
        .offset:         24
        .size:           8
        .value_kind:     global_buffer
      - .offset:         32
        .size:           4
        .value_kind:     by_value
      - .offset:         36
        .size:           4
        .value_kind:     by_value
      - .address_space:  global
        .offset:         40
        .size:           8
        .value_kind:     global_buffer
      - .address_space:  global
        .offset:         48
        .size:           8
        .value_kind:     global_buffer
      - .address_space:  global
        .offset:         56
        .size:           8
        .value_kind:     global_buffer
      - .offset:         64
        .size:           8
        .value_kind:     by_value
      - .address_space:  global
        .offset:         72
        .size:           8
        .value_kind:     global_buffer
      - .offset:         80
        .size:           8
        .value_kind:     by_value
      - .address_space:  global
        .offset:         88
        .size:           8
        .value_kind:     global_buffer
      - .offset:         96
        .size:           8
        .value_kind:     by_value
      - .offset:         104
        .size:           4
        .value_kind:     by_value
      - .address_space:  global
        .offset:         112
        .size:           8
        .value_kind:     global_buffer
      - .address_space:  global
        .offset:         120
        .size:           8
        .value_kind:     global_buffer
      - .address_space:  global
        .offset:         128
        .size:           8
        .value_kind:     global_buffer
      - .address_space:  global
        .offset:         136
        .size:           8
        .value_kind:     global_buffer
      - .address_space:  global
        .offset:         144
        .size:           8
        .value_kind:     global_buffer
      - .address_space:  global
        .offset:         152
        .size:           8
        .value_kind:     global_buffer
      - .offset:         160
        .size:           4
        .value_kind:     by_value
      - .offset:         168
        .size:           4
        .value_kind:     hidden_block_count_x
      - .offset:         172
        .size:           4
        .value_kind:     hidden_block_count_y
      - .offset:         176
        .size:           4
        .value_kind:     hidden_block_count_z
      - .offset:         180
        .size:           2
        .value_kind:     hidden_group_size_x
      - .offset:         182
        .size:           2
        .value_kind:     hidden_group_size_y
      - .offset:         184
        .size:           2
        .value_kind:     hidden_group_size_z
      - .offset:         186
        .size:           2
        .value_kind:     hidden_remainder_x
      - .offset:         188
        .size:           2
        .value_kind:     hidden_remainder_y
      - .offset:         190
        .size:           2
        .value_kind:     hidden_remainder_z
      - .offset:         208
        .size:           8
        .value_kind:     hidden_global_offset_x
      - .offset:         216
        .size:           8
        .value_kind:     hidden_global_offset_y
      - .offset:         224
        .size:           8
        .value_kind:     hidden_global_offset_z
      - .offset:         232
        .size:           2
        .value_kind:     hidden_grid_dims
    .group_segment_fixed_size: 0
    .kernarg_segment_align: 8
    .kernarg_segment_size: 424
    .language:       OpenCL C
    .language_version:
      - 2
      - 0
    .max_flat_workgroup_size: 1024
    .name:           _ZN9rocsolver6v33100L22stebz_synthesis_kernelIfPfEEv15rocblas_erange_15rocblas_eorder_iiiT0_iiPiS6_PT_lS6_lS6_liS6_S8_S8_S8_S8_S6_S7_
    .private_segment_fixed_size: 0
    .sgpr_count:     44
    .sgpr_spill_count: 0
    .symbol:         _ZN9rocsolver6v33100L22stebz_synthesis_kernelIfPfEEv15rocblas_erange_15rocblas_eorder_iiiT0_iiPiS6_PT_lS6_lS6_liS6_S8_S8_S8_S8_S6_S7_.kd
    .uniform_work_group_size: 1
    .uses_dynamic_stack: false
    .vgpr_count:     42
    .vgpr_spill_count: 0
    .wavefront_size: 64
  - .agpr_count:     0
    .args:
      - .offset:         0
        .size:           4
        .value_kind:     by_value
      - .offset:         8
        .size:           8
        .value_kind:     by_value
      - .offset:         16
        .size:           8
        .value_kind:     by_value
      - .address_space:  global
        .offset:         24
        .size:           8
        .value_kind:     global_buffer
      - .offset:         32
        .size:           4
        .value_kind:     by_value
      - .offset:         40
        .size:           8
        .value_kind:     by_value
      - .address_space:  global
        .offset:         48
        .size:           8
        .value_kind:     global_buffer
      - .address_space:  global
        .offset:         56
        .size:           8
        .value_kind:     global_buffer
      - .address_space:  global
        .offset:         64
        .size:           8
        .value_kind:     global_buffer
      - .offset:         72
        .size:           8
        .value_kind:     by_value
      - .address_space:  global
        .offset:         80
        .size:           8
        .value_kind:     global_buffer
      - .offset:         88
        .size:           8
        .value_kind:     by_value
      - .address_space:  global
        .offset:         96
        .size:           8
        .value_kind:     global_buffer
      - .offset:         104
        .size:           8
        .value_kind:     by_value
      - .offset:         112
        .size:           4
        .value_kind:     by_value
      - .offset:         120
        .size:           4
        .value_kind:     hidden_block_count_x
      - .offset:         124
        .size:           4
        .value_kind:     hidden_block_count_y
      - .offset:         128
        .size:           4
        .value_kind:     hidden_block_count_z
      - .offset:         132
        .size:           2
        .value_kind:     hidden_group_size_x
      - .offset:         134
        .size:           2
        .value_kind:     hidden_group_size_y
      - .offset:         136
        .size:           2
        .value_kind:     hidden_group_size_z
      - .offset:         138
        .size:           2
        .value_kind:     hidden_remainder_x
      - .offset:         140
        .size:           2
        .value_kind:     hidden_remainder_y
      - .offset:         142
        .size:           2
        .value_kind:     hidden_remainder_z
      - .offset:         160
        .size:           8
        .value_kind:     hidden_global_offset_x
      - .offset:         168
        .size:           8
        .value_kind:     hidden_global_offset_y
      - .offset:         176
        .size:           8
        .value_kind:     hidden_global_offset_z
      - .offset:         184
        .size:           2
        .value_kind:     hidden_grid_dims
    .group_segment_fixed_size: 0
    .kernarg_segment_align: 8
    .kernarg_segment_size: 376
    .language:       OpenCL C
    .language_version:
      - 2
      - 0
    .max_flat_workgroup_size: 1024
    .name:           _ZN9rocsolver6v33100L18stebz_case1_kernelIdPdEEv15rocblas_erange_T_S4_T0_ilPiS6_PS4_lS6_lS6_li
    .private_segment_fixed_size: 0
    .sgpr_count:     32
    .sgpr_spill_count: 0
    .symbol:         _ZN9rocsolver6v33100L18stebz_case1_kernelIdPdEEv15rocblas_erange_T_S4_T0_ilPiS6_PS4_lS6_lS6_li.kd
    .uniform_work_group_size: 1
    .uses_dynamic_stack: false
    .vgpr_count:     11
    .vgpr_spill_count: 0
    .wavefront_size: 64
  - .agpr_count:     0
    .args:
      - .offset:         0
        .size:           4
        .value_kind:     by_value
      - .offset:         4
        .size:           4
        .value_kind:     by_value
      - .offset:         8
        .size:           8
        .value_kind:     by_value
      - .offset:         16
        .size:           8
        .value_kind:     by_value
      - .offset:         24
        .size:           4
        .value_kind:     by_value
      - .offset:         28
        .size:           4
        .value_kind:     by_value
      - .address_space:  global
        .offset:         32
        .size:           8
        .value_kind:     global_buffer
      - .offset:         40
        .size:           4
        .value_kind:     by_value
      - .offset:         44
        .size:           4
        .value_kind:     by_value
      - .address_space:  global
        .offset:         48
        .size:           8
        .value_kind:     global_buffer
      - .offset:         56
        .size:           4
        .value_kind:     by_value
      - .offset:         60
        .size:           4
        .value_kind:     by_value
      - .address_space:  global
        .offset:         64
        .size:           8
        .value_kind:     global_buffer
      - .address_space:  global
        .offset:         72
        .size:           8
        .value_kind:     global_buffer
      - .offset:         80
        .size:           8
        .value_kind:     by_value
      - .address_space:  global
        .offset:         88
        .size:           8
        .value_kind:     global_buffer
      - .offset:         96
        .size:           8
        .value_kind:     by_value
      - .address_space:  global
        .offset:         104
        .size:           8
        .value_kind:     global_buffer
      - .address_space:  global
        .offset:         112
        .size:           8
        .value_kind:     global_buffer
      - .address_space:  global
        .offset:         120
        .size:           8
        .value_kind:     global_buffer
      - .address_space:  global
        .offset:         128
        .size:           8
        .value_kind:     global_buffer
      - .address_space:  global
        .offset:         136
        .size:           8
        .value_kind:     global_buffer
      - .address_space:  global
        .offset:         144
        .size:           8
        .value_kind:     global_buffer
      - .offset:         152
        .size:           8
        .value_kind:     by_value
      - .offset:         160
        .size:           8
        .value_kind:     by_value
    .group_segment_fixed_size: 3072
    .kernarg_segment_align: 8
    .kernarg_segment_size: 168
    .language:       OpenCL C
    .language_version:
      - 2
      - 0
    .max_flat_workgroup_size: 256
    .name:           _ZN9rocsolver6v33100L22stebz_splitting_kernelIdPdEEv15rocblas_erange_iT_S4_iiT0_iiS5_iiPiPS4_lS6_lS6_S7_S7_S7_S7_S6_S4_S4_
    .private_segment_fixed_size: 0
    .sgpr_count:     64
    .sgpr_spill_count: 0
    .symbol:         _ZN9rocsolver6v33100L22stebz_splitting_kernelIdPdEEv15rocblas_erange_iT_S4_iiT0_iiS5_iiPiPS4_lS6_lS6_S7_S7_S7_S7_S6_S4_S4_.kd
    .uniform_work_group_size: 1
    .uses_dynamic_stack: false
    .vgpr_count:     44
    .vgpr_spill_count: 0
    .wavefront_size: 64
  - .agpr_count:     0
    .args:
      - .offset:         0
        .size:           4
        .value_kind:     by_value
      - .offset:         4
        .size:           4
        .value_kind:     by_value
      - .offset:         8
        .size:           8
        .value_kind:     by_value
      - .address_space:  global
        .offset:         16
        .size:           8
        .value_kind:     global_buffer
      - .offset:         24
        .size:           4
        .value_kind:     by_value
      - .offset:         28
        .size:           4
        .value_kind:     by_value
      - .address_space:  global
        .offset:         32
        .size:           8
        .value_kind:     global_buffer
      - .offset:         40
        .size:           4
        .value_kind:     by_value
      - .offset:         44
        .size:           4
        .value_kind:     by_value
      - .address_space:  global
        .offset:         48
        .size:           8
        .value_kind:     global_buffer
      - .address_space:  global
        .offset:         56
        .size:           8
        .value_kind:     global_buffer
      - .offset:         64
        .size:           8
        .value_kind:     by_value
      - .address_space:  global
        .offset:         72
        .size:           8
        .value_kind:     global_buffer
      - .offset:         80
        .size:           8
        .value_kind:     by_value
      - .address_space:  global
        .offset:         88
        .size:           8
        .value_kind:     global_buffer
      - .offset:         96
        .size:           8
        .value_kind:     by_value
      - .address_space:  global
        .offset:         104
        .size:           8
        .value_kind:     global_buffer
      - .address_space:  global
        .offset:         112
        .size:           8
        .value_kind:     global_buffer
      - .address_space:  global
        .offset:         120
        .size:           8
        .value_kind:     global_buffer
      - .address_space:  global
        .offset:         128
        .size:           8
        .value_kind:     global_buffer
      - .address_space:  global
        .offset:         136
        .size:           8
        .value_kind:     global_buffer
      - .address_space:  global
        .offset:         144
        .size:           8
        .value_kind:     global_buffer
      - .address_space:  global
        .offset:         152
        .size:           8
        .value_kind:     global_buffer
      - .offset:         160
        .size:           8
        .value_kind:     by_value
      - .offset:         168
        .size:           8
        .value_kind:     by_value
    .group_segment_fixed_size: 6664
    .kernarg_segment_align: 8
    .kernarg_segment_size: 176
    .language:       OpenCL C
    .language_version:
      - 2
      - 0
    .max_flat_workgroup_size: 128
    .name:           _ZN9rocsolver6v33100L22stebz_bisection_kernelIdPdEEv15rocblas_erange_iT_T0_iiS5_iiPiPS4_lS6_lS6_lS6_S6_S7_S7_S7_S7_S6_S4_S4_
    .private_segment_fixed_size: 0
    .sgpr_count:     100
    .sgpr_spill_count: 2
    .symbol:         _ZN9rocsolver6v33100L22stebz_bisection_kernelIdPdEEv15rocblas_erange_iT_T0_iiS5_iiPiPS4_lS6_lS6_lS6_S6_S7_S7_S7_S7_S6_S4_S4_.kd
    .uniform_work_group_size: 1
    .uses_dynamic_stack: false
    .vgpr_count:     64
    .vgpr_spill_count: 0
    .wavefront_size: 64
  - .agpr_count:     0
    .args:
      - .offset:         0
        .size:           4
        .value_kind:     by_value
      - .offset:         4
        .size:           4
        .value_kind:     by_value
      - .offset:         8
        .size:           4
        .value_kind:     by_value
      - .offset:         12
        .size:           4
        .value_kind:     by_value
      - .offset:         16
        .size:           4
        .value_kind:     by_value
      - .address_space:  global
        .offset:         24
        .size:           8
        .value_kind:     global_buffer
      - .offset:         32
        .size:           4
        .value_kind:     by_value
      - .offset:         36
        .size:           4
        .value_kind:     by_value
      - .address_space:  global
        .offset:         40
        .size:           8
        .value_kind:     global_buffer
      - .address_space:  global
        .offset:         48
        .size:           8
        .value_kind:     global_buffer
      - .address_space:  global
        .offset:         56
        .size:           8
        .value_kind:     global_buffer
      - .offset:         64
        .size:           8
        .value_kind:     by_value
      - .address_space:  global
        .offset:         72
        .size:           8
        .value_kind:     global_buffer
      - .offset:         80
        .size:           8
        .value_kind:     by_value
      - .address_space:  global
        .offset:         88
        .size:           8
        .value_kind:     global_buffer
      - .offset:         96
        .size:           8
        .value_kind:     by_value
      - .offset:         104
        .size:           4
        .value_kind:     by_value
      - .address_space:  global
        .offset:         112
        .size:           8
        .value_kind:     global_buffer
      - .address_space:  global
        .offset:         120
        .size:           8
        .value_kind:     global_buffer
      - .address_space:  global
        .offset:         128
        .size:           8
        .value_kind:     global_buffer
      - .address_space:  global
        .offset:         136
        .size:           8
        .value_kind:     global_buffer
      - .address_space:  global
        .offset:         144
        .size:           8
        .value_kind:     global_buffer
      - .address_space:  global
        .offset:         152
        .size:           8
        .value_kind:     global_buffer
      - .offset:         160
        .size:           8
        .value_kind:     by_value
      - .offset:         168
        .size:           4
        .value_kind:     hidden_block_count_x
      - .offset:         172
        .size:           4
        .value_kind:     hidden_block_count_y
      - .offset:         176
        .size:           4
        .value_kind:     hidden_block_count_z
      - .offset:         180
        .size:           2
        .value_kind:     hidden_group_size_x
      - .offset:         182
        .size:           2
        .value_kind:     hidden_group_size_y
      - .offset:         184
        .size:           2
        .value_kind:     hidden_group_size_z
      - .offset:         186
        .size:           2
        .value_kind:     hidden_remainder_x
      - .offset:         188
        .size:           2
        .value_kind:     hidden_remainder_y
      - .offset:         190
        .size:           2
        .value_kind:     hidden_remainder_z
      - .offset:         208
        .size:           8
        .value_kind:     hidden_global_offset_x
      - .offset:         216
        .size:           8
        .value_kind:     hidden_global_offset_y
      - .offset:         224
        .size:           8
        .value_kind:     hidden_global_offset_z
      - .offset:         232
        .size:           2
        .value_kind:     hidden_grid_dims
    .group_segment_fixed_size: 0
    .kernarg_segment_align: 8
    .kernarg_segment_size: 424
    .language:       OpenCL C
    .language_version:
      - 2
      - 0
    .max_flat_workgroup_size: 1024
    .name:           _ZN9rocsolver6v33100L22stebz_synthesis_kernelIdPdEEv15rocblas_erange_15rocblas_eorder_iiiT0_iiPiS6_PT_lS6_lS6_liS6_S8_S8_S8_S8_S6_S7_
    .private_segment_fixed_size: 0
    .sgpr_count:     44
    .sgpr_spill_count: 0
    .symbol:         _ZN9rocsolver6v33100L22stebz_synthesis_kernelIdPdEEv15rocblas_erange_15rocblas_eorder_iiiT0_iiPiS6_PT_lS6_lS6_liS6_S8_S8_S8_S8_S6_S7_.kd
    .uniform_work_group_size: 1
    .uses_dynamic_stack: false
    .vgpr_count:     52
    .vgpr_spill_count: 0
    .wavefront_size: 64
amdhsa.target:   amdgcn-amd-amdhsa--gfx90a
amdhsa.version:
  - 1
  - 2
...

	.end_amdgpu_metadata
